;; amdgpu-corpus repo=ROCm/rocFFT kind=compiled arch=gfx1201 opt=O3
	.text
	.amdgcn_target "amdgcn-amd-amdhsa--gfx1201"
	.amdhsa_code_object_version 6
	.protected	fft_rtc_back_len945_factors_3_3_3_5_7_wgs_63_tpt_63_halfLds_sp_ip_CI_sbrr_dirReg ; -- Begin function fft_rtc_back_len945_factors_3_3_3_5_7_wgs_63_tpt_63_halfLds_sp_ip_CI_sbrr_dirReg
	.globl	fft_rtc_back_len945_factors_3_3_3_5_7_wgs_63_tpt_63_halfLds_sp_ip_CI_sbrr_dirReg
	.p2align	8
	.type	fft_rtc_back_len945_factors_3_3_3_5_7_wgs_63_tpt_63_halfLds_sp_ip_CI_sbrr_dirReg,@function
fft_rtc_back_len945_factors_3_3_3_5_7_wgs_63_tpt_63_halfLds_sp_ip_CI_sbrr_dirReg: ; @fft_rtc_back_len945_factors_3_3_3_5_7_wgs_63_tpt_63_halfLds_sp_ip_CI_sbrr_dirReg
; %bb.0:
	s_clause 0x2
	s_load_b64 s[12:13], s[0:1], 0x18
	s_load_b128 s[4:7], s[0:1], 0x0
	s_load_b64 s[10:11], s[0:1], 0x50
	v_mul_u32_u24_e32 v1, 0x411, v0
	v_mov_b32_e32 v3, 0
	s_delay_alu instid0(VALU_DEP_2) | instskip(NEXT) | instid1(VALU_DEP_1)
	v_lshrrev_b32_e32 v1, 16, v1
	v_add_nc_u32_e32 v5, ttmp9, v1
	v_mov_b32_e32 v1, 0
	v_mov_b32_e32 v2, 0
	;; [unrolled: 1-line block ×3, first 2 shown]
	s_wait_kmcnt 0x0
	s_load_b64 s[8:9], s[12:13], 0x0
	v_cmp_lt_u64_e64 s2, s[6:7], 2
	s_delay_alu instid0(VALU_DEP_1)
	s_and_b32 vcc_lo, exec_lo, s2
	s_cbranch_vccnz .LBB0_8
; %bb.1:
	s_load_b64 s[2:3], s[0:1], 0x10
	v_mov_b32_e32 v1, 0
	v_mov_b32_e32 v2, 0
	s_add_nc_u64 s[14:15], s[12:13], 8
	s_mov_b64 s[16:17], 1
	s_wait_kmcnt 0x0
	s_add_nc_u64 s[18:19], s[2:3], 8
	s_mov_b32 s3, 0
.LBB0_2:                                ; =>This Inner Loop Header: Depth=1
	s_load_b64 s[20:21], s[18:19], 0x0
                                        ; implicit-def: $vgpr7_vgpr8
	s_mov_b32 s2, exec_lo
	s_wait_kmcnt 0x0
	v_or_b32_e32 v4, s21, v6
	s_delay_alu instid0(VALU_DEP_1)
	v_cmpx_ne_u64_e32 0, v[3:4]
	s_wait_alu 0xfffe
	s_xor_b32 s22, exec_lo, s2
	s_cbranch_execz .LBB0_4
; %bb.3:                                ;   in Loop: Header=BB0_2 Depth=1
	s_cvt_f32_u32 s2, s20
	s_cvt_f32_u32 s23, s21
	s_sub_nc_u64 s[26:27], 0, s[20:21]
	s_wait_alu 0xfffe
	s_delay_alu instid0(SALU_CYCLE_1) | instskip(SKIP_1) | instid1(SALU_CYCLE_2)
	s_fmamk_f32 s2, s23, 0x4f800000, s2
	s_wait_alu 0xfffe
	v_s_rcp_f32 s2, s2
	s_delay_alu instid0(TRANS32_DEP_1) | instskip(SKIP_1) | instid1(SALU_CYCLE_2)
	s_mul_f32 s2, s2, 0x5f7ffffc
	s_wait_alu 0xfffe
	s_mul_f32 s23, s2, 0x2f800000
	s_wait_alu 0xfffe
	s_delay_alu instid0(SALU_CYCLE_2) | instskip(SKIP_1) | instid1(SALU_CYCLE_2)
	s_trunc_f32 s23, s23
	s_wait_alu 0xfffe
	s_fmamk_f32 s2, s23, 0xcf800000, s2
	s_cvt_u32_f32 s25, s23
	s_wait_alu 0xfffe
	s_delay_alu instid0(SALU_CYCLE_1) | instskip(SKIP_1) | instid1(SALU_CYCLE_2)
	s_cvt_u32_f32 s24, s2
	s_wait_alu 0xfffe
	s_mul_u64 s[28:29], s[26:27], s[24:25]
	s_wait_alu 0xfffe
	s_mul_hi_u32 s31, s24, s29
	s_mul_i32 s30, s24, s29
	s_mul_hi_u32 s2, s24, s28
	s_mul_i32 s33, s25, s28
	s_wait_alu 0xfffe
	s_add_nc_u64 s[30:31], s[2:3], s[30:31]
	s_mul_hi_u32 s23, s25, s28
	s_mul_hi_u32 s34, s25, s29
	s_add_co_u32 s2, s30, s33
	s_wait_alu 0xfffe
	s_add_co_ci_u32 s2, s31, s23
	s_mul_i32 s28, s25, s29
	s_add_co_ci_u32 s29, s34, 0
	s_wait_alu 0xfffe
	s_add_nc_u64 s[28:29], s[2:3], s[28:29]
	s_wait_alu 0xfffe
	v_add_co_u32 v4, s2, s24, s28
	s_delay_alu instid0(VALU_DEP_1) | instskip(SKIP_1) | instid1(VALU_DEP_1)
	s_cmp_lg_u32 s2, 0
	s_add_co_ci_u32 s25, s25, s29
	v_readfirstlane_b32 s24, v4
	s_wait_alu 0xfffe
	s_delay_alu instid0(VALU_DEP_1)
	s_mul_u64 s[26:27], s[26:27], s[24:25]
	s_wait_alu 0xfffe
	s_mul_hi_u32 s29, s24, s27
	s_mul_i32 s28, s24, s27
	s_mul_hi_u32 s2, s24, s26
	s_mul_i32 s30, s25, s26
	s_wait_alu 0xfffe
	s_add_nc_u64 s[28:29], s[2:3], s[28:29]
	s_mul_hi_u32 s23, s25, s26
	s_mul_hi_u32 s24, s25, s27
	s_wait_alu 0xfffe
	s_add_co_u32 s2, s28, s30
	s_add_co_ci_u32 s2, s29, s23
	s_mul_i32 s26, s25, s27
	s_add_co_ci_u32 s27, s24, 0
	s_wait_alu 0xfffe
	s_add_nc_u64 s[26:27], s[2:3], s[26:27]
	s_wait_alu 0xfffe
	v_add_co_u32 v4, s2, v4, s26
	s_delay_alu instid0(VALU_DEP_1) | instskip(SKIP_1) | instid1(VALU_DEP_1)
	s_cmp_lg_u32 s2, 0
	s_add_co_ci_u32 s2, s25, s27
	v_mul_hi_u32 v13, v5, v4
	s_wait_alu 0xfffe
	v_mad_co_u64_u32 v[7:8], null, v5, s2, 0
	v_mad_co_u64_u32 v[9:10], null, v6, v4, 0
	;; [unrolled: 1-line block ×3, first 2 shown]
	s_delay_alu instid0(VALU_DEP_3) | instskip(SKIP_1) | instid1(VALU_DEP_4)
	v_add_co_u32 v4, vcc_lo, v13, v7
	s_wait_alu 0xfffd
	v_add_co_ci_u32_e32 v7, vcc_lo, 0, v8, vcc_lo
	s_delay_alu instid0(VALU_DEP_2) | instskip(SKIP_1) | instid1(VALU_DEP_2)
	v_add_co_u32 v4, vcc_lo, v4, v9
	s_wait_alu 0xfffd
	v_add_co_ci_u32_e32 v4, vcc_lo, v7, v10, vcc_lo
	s_wait_alu 0xfffd
	v_add_co_ci_u32_e32 v7, vcc_lo, 0, v12, vcc_lo
	s_delay_alu instid0(VALU_DEP_2) | instskip(SKIP_1) | instid1(VALU_DEP_2)
	v_add_co_u32 v4, vcc_lo, v4, v11
	s_wait_alu 0xfffd
	v_add_co_ci_u32_e32 v9, vcc_lo, 0, v7, vcc_lo
	s_delay_alu instid0(VALU_DEP_2) | instskip(SKIP_1) | instid1(VALU_DEP_3)
	v_mul_lo_u32 v10, s21, v4
	v_mad_co_u64_u32 v[7:8], null, s20, v4, 0
	v_mul_lo_u32 v11, s20, v9
	s_delay_alu instid0(VALU_DEP_2) | instskip(NEXT) | instid1(VALU_DEP_2)
	v_sub_co_u32 v7, vcc_lo, v5, v7
	v_add3_u32 v8, v8, v11, v10
	s_delay_alu instid0(VALU_DEP_1) | instskip(SKIP_1) | instid1(VALU_DEP_1)
	v_sub_nc_u32_e32 v10, v6, v8
	s_wait_alu 0xfffd
	v_subrev_co_ci_u32_e64 v10, s2, s21, v10, vcc_lo
	v_add_co_u32 v11, s2, v4, 2
	s_wait_alu 0xf1ff
	v_add_co_ci_u32_e64 v12, s2, 0, v9, s2
	v_sub_co_u32 v13, s2, v7, s20
	v_sub_co_ci_u32_e32 v8, vcc_lo, v6, v8, vcc_lo
	s_wait_alu 0xf1ff
	v_subrev_co_ci_u32_e64 v10, s2, 0, v10, s2
	s_delay_alu instid0(VALU_DEP_3) | instskip(NEXT) | instid1(VALU_DEP_3)
	v_cmp_le_u32_e32 vcc_lo, s20, v13
	v_cmp_eq_u32_e64 s2, s21, v8
	s_wait_alu 0xfffd
	v_cndmask_b32_e64 v13, 0, -1, vcc_lo
	v_cmp_le_u32_e32 vcc_lo, s21, v10
	s_wait_alu 0xfffd
	v_cndmask_b32_e64 v14, 0, -1, vcc_lo
	v_cmp_le_u32_e32 vcc_lo, s20, v7
	;; [unrolled: 3-line block ×3, first 2 shown]
	s_wait_alu 0xfffd
	v_cndmask_b32_e64 v15, 0, -1, vcc_lo
	v_cmp_eq_u32_e32 vcc_lo, s21, v10
	s_wait_alu 0xf1ff
	s_delay_alu instid0(VALU_DEP_2)
	v_cndmask_b32_e64 v7, v15, v7, s2
	s_wait_alu 0xfffd
	v_cndmask_b32_e32 v10, v14, v13, vcc_lo
	v_add_co_u32 v13, vcc_lo, v4, 1
	s_wait_alu 0xfffd
	v_add_co_ci_u32_e32 v14, vcc_lo, 0, v9, vcc_lo
	s_delay_alu instid0(VALU_DEP_3) | instskip(SKIP_2) | instid1(VALU_DEP_3)
	v_cmp_ne_u32_e32 vcc_lo, 0, v10
	s_wait_alu 0xfffd
	v_cndmask_b32_e32 v10, v13, v11, vcc_lo
	v_cndmask_b32_e32 v8, v14, v12, vcc_lo
	v_cmp_ne_u32_e32 vcc_lo, 0, v7
	s_wait_alu 0xfffd
	s_delay_alu instid0(VALU_DEP_2)
	v_dual_cndmask_b32 v7, v4, v10 :: v_dual_cndmask_b32 v8, v9, v8
.LBB0_4:                                ;   in Loop: Header=BB0_2 Depth=1
	s_wait_alu 0xfffe
	s_and_not1_saveexec_b32 s2, s22
	s_cbranch_execz .LBB0_6
; %bb.5:                                ;   in Loop: Header=BB0_2 Depth=1
	v_cvt_f32_u32_e32 v4, s20
	s_sub_co_i32 s22, 0, s20
	s_delay_alu instid0(VALU_DEP_1) | instskip(NEXT) | instid1(TRANS32_DEP_1)
	v_rcp_iflag_f32_e32 v4, v4
	v_mul_f32_e32 v4, 0x4f7ffffe, v4
	s_delay_alu instid0(VALU_DEP_1) | instskip(SKIP_1) | instid1(VALU_DEP_1)
	v_cvt_u32_f32_e32 v4, v4
	s_wait_alu 0xfffe
	v_mul_lo_u32 v7, s22, v4
	s_delay_alu instid0(VALU_DEP_1) | instskip(NEXT) | instid1(VALU_DEP_1)
	v_mul_hi_u32 v7, v4, v7
	v_add_nc_u32_e32 v4, v4, v7
	s_delay_alu instid0(VALU_DEP_1) | instskip(NEXT) | instid1(VALU_DEP_1)
	v_mul_hi_u32 v4, v5, v4
	v_mul_lo_u32 v7, v4, s20
	v_add_nc_u32_e32 v8, 1, v4
	s_delay_alu instid0(VALU_DEP_2) | instskip(NEXT) | instid1(VALU_DEP_1)
	v_sub_nc_u32_e32 v7, v5, v7
	v_subrev_nc_u32_e32 v9, s20, v7
	v_cmp_le_u32_e32 vcc_lo, s20, v7
	s_wait_alu 0xfffd
	s_delay_alu instid0(VALU_DEP_2) | instskip(NEXT) | instid1(VALU_DEP_1)
	v_dual_cndmask_b32 v7, v7, v9 :: v_dual_cndmask_b32 v4, v4, v8
	v_cmp_le_u32_e32 vcc_lo, s20, v7
	s_delay_alu instid0(VALU_DEP_2) | instskip(SKIP_1) | instid1(VALU_DEP_1)
	v_add_nc_u32_e32 v8, 1, v4
	s_wait_alu 0xfffd
	v_dual_cndmask_b32 v7, v4, v8 :: v_dual_mov_b32 v8, v3
.LBB0_6:                                ;   in Loop: Header=BB0_2 Depth=1
	s_wait_alu 0xfffe
	s_or_b32 exec_lo, exec_lo, s2
	s_load_b64 s[22:23], s[14:15], 0x0
	s_delay_alu instid0(VALU_DEP_1)
	v_mul_lo_u32 v4, v8, s20
	v_mul_lo_u32 v11, v7, s21
	v_mad_co_u64_u32 v[9:10], null, v7, s20, 0
	s_add_nc_u64 s[16:17], s[16:17], 1
	s_add_nc_u64 s[14:15], s[14:15], 8
	s_wait_alu 0xfffe
	v_cmp_ge_u64_e64 s2, s[16:17], s[6:7]
	s_add_nc_u64 s[18:19], s[18:19], 8
	s_delay_alu instid0(VALU_DEP_2) | instskip(NEXT) | instid1(VALU_DEP_3)
	v_add3_u32 v4, v10, v11, v4
	v_sub_co_u32 v5, vcc_lo, v5, v9
	s_wait_alu 0xfffd
	s_delay_alu instid0(VALU_DEP_2) | instskip(SKIP_3) | instid1(VALU_DEP_2)
	v_sub_co_ci_u32_e32 v4, vcc_lo, v6, v4, vcc_lo
	s_and_b32 vcc_lo, exec_lo, s2
	s_wait_kmcnt 0x0
	v_mul_lo_u32 v6, s23, v5
	v_mul_lo_u32 v4, s22, v4
	v_mad_co_u64_u32 v[1:2], null, s22, v5, v[1:2]
	s_delay_alu instid0(VALU_DEP_1)
	v_add3_u32 v2, v6, v2, v4
	s_wait_alu 0xfffe
	s_cbranch_vccnz .LBB0_9
; %bb.7:                                ;   in Loop: Header=BB0_2 Depth=1
	v_dual_mov_b32 v5, v7 :: v_dual_mov_b32 v6, v8
	s_branch .LBB0_2
.LBB0_8:
	v_dual_mov_b32 v8, v6 :: v_dual_mov_b32 v7, v5
.LBB0_9:
	s_lshl_b64 s[2:3], s[6:7], 3
	v_mul_hi_u32 v3, 0x4104105, v0
	s_wait_alu 0xfffe
	s_add_nc_u64 s[2:3], s[12:13], s[2:3]
	s_load_b64 s[0:1], s[0:1], 0x20
	s_load_b64 s[2:3], s[2:3], 0x0
                                        ; implicit-def: $vgpr33
                                        ; implicit-def: $vgpr48
	s_delay_alu instid0(VALU_DEP_1) | instskip(NEXT) | instid1(VALU_DEP_1)
	v_mul_u32_u24_e32 v3, 63, v3
	v_sub_nc_u32_e32 v47, v0, v3
	s_delay_alu instid0(VALU_DEP_1)
	v_add_nc_u32_e32 v32, 63, v47
	v_add_nc_u32_e32 v35, 0xbd, v47
	;; [unrolled: 1-line block ×3, first 2 shown]
	s_wait_kmcnt 0x0
	v_cmp_gt_u64_e32 vcc_lo, s[0:1], v[7:8]
	v_mul_lo_u32 v3, s2, v8
	v_mul_lo_u32 v4, s3, v7
	v_mad_co_u64_u32 v[0:1], null, s2, v7, v[1:2]
	v_cmp_le_u64_e64 s0, s[0:1], v[7:8]
	s_delay_alu instid0(VALU_DEP_2) | instskip(NEXT) | instid1(VALU_DEP_2)
	v_add3_u32 v1, v4, v1, v3
	s_and_saveexec_b32 s1, s0
	s_wait_alu 0xfffe
	s_xor_b32 s0, exec_lo, s1
; %bb.10:
	v_add_nc_u32_e32 v33, 63, v47
	v_add_nc_u32_e32 v48, 0x7e, v47
	;; [unrolled: 1-line block ×4, first 2 shown]
; %bb.11:
	s_wait_alu 0xfffe
	s_or_saveexec_b32 s1, s0
	v_lshlrev_b64_e32 v[0:1], 3, v[0:1]
                                        ; implicit-def: $vgpr3
                                        ; implicit-def: $vgpr15
                                        ; implicit-def: $vgpr13
                                        ; implicit-def: $vgpr19
                                        ; implicit-def: $vgpr17
                                        ; implicit-def: $vgpr31
                                        ; implicit-def: $vgpr9
                                        ; implicit-def: $vgpr27
                                        ; implicit-def: $vgpr23
                                        ; implicit-def: $vgpr25
                                        ; implicit-def: $vgpr11
                                        ; implicit-def: $vgpr29
                                        ; implicit-def: $vgpr7
                                        ; implicit-def: $vgpr21
                                        ; implicit-def: $vgpr5
	s_wait_alu 0xfffe
	s_xor_b32 exec_lo, exec_lo, s1
	s_cbranch_execz .LBB0_13
; %bb.12:
	v_add_nc_u32_e32 v12, 0x13b, v47
	v_mad_co_u64_u32 v[2:3], null, s8, v47, 0
	v_mad_co_u64_u32 v[6:7], null, s8, v32, 0
	s_delay_alu instid0(VALU_DEP_3)
	v_mad_co_u64_u32 v[4:5], null, s8, v12, 0
	v_add_co_u32 v33, s0, s10, v0
	s_wait_alu 0xf1ff
	v_add_co_ci_u32_e64 v41, s0, s11, v1, s0
	v_add_nc_u32_e32 v39, 0x237, v47
	v_add_nc_u32_e32 v48, 0x7e, v47
	v_mad_co_u64_u32 v[10:11], null, s9, v47, v[3:4]
	v_add_nc_u32_e32 v24, 0x1b9, v47
	v_add_nc_u32_e32 v26, 0x2f4, v47
	s_delay_alu instid0(VALU_DEP_4) | instskip(SKIP_1) | instid1(VALU_DEP_4)
	v_mad_co_u64_u32 v[20:21], null, s8, v48, 0
	v_add_nc_u32_e32 v40, 0x372, v47
	v_mad_co_u64_u32 v[22:23], null, s8, v24, 0
	v_mov_b32_e32 v3, v10
	v_mad_co_u64_u32 v[11:12], null, s9, v12, v[5:6]
	v_add_nc_u32_e32 v14, 0x17a, v47
	s_delay_alu instid0(VALU_DEP_3) | instskip(NEXT) | instid1(VALU_DEP_3)
	v_lshlrev_b64_e32 v[2:3], 3, v[2:3]
	v_mov_b32_e32 v5, v11
	s_delay_alu instid0(VALU_DEP_3) | instskip(SKIP_1) | instid1(VALU_DEP_4)
	v_mad_co_u64_u32 v[16:17], null, s8, v14, 0
	v_add_nc_u32_e32 v13, 0x276, v47
	v_add_co_u32 v2, s0, v33, v2
	s_delay_alu instid0(VALU_DEP_4) | instskip(SKIP_3) | instid1(VALU_DEP_3)
	v_lshlrev_b64_e32 v[4:5], 3, v[4:5]
	s_wait_alu 0xf1ff
	v_add_co_ci_u32_e64 v3, s0, v41, v3, s0
	v_mad_co_u64_u32 v[8:9], null, s8, v13, 0
	v_add_co_u32 v4, s0, v33, v4
	s_wait_alu 0xf1ff
	v_add_co_ci_u32_e64 v5, s0, v41, v5, s0
	s_delay_alu instid0(VALU_DEP_3) | instskip(NEXT) | instid1(VALU_DEP_1)
	v_mad_co_u64_u32 v[10:11], null, s9, v32, v[7:8]
	v_mad_co_u64_u32 v[11:12], null, s9, v13, v[9:10]
	v_dual_mov_b32 v7, v10 :: v_dual_add_nc_u32 v12, 0x2b5, v47
	v_mov_b32_e32 v10, v17
	s_delay_alu instid0(VALU_DEP_2) | instskip(NEXT) | instid1(VALU_DEP_4)
	v_mad_co_u64_u32 v[18:19], null, s8, v12, 0
	v_mov_b32_e32 v9, v11
	s_delay_alu instid0(VALU_DEP_4) | instskip(NEXT) | instid1(VALU_DEP_4)
	v_lshlrev_b64_e32 v[6:7], 3, v[6:7]
	v_mad_co_u64_u32 v[10:11], null, s9, v14, v[10:11]
	s_delay_alu instid0(VALU_DEP_3) | instskip(SKIP_1) | instid1(VALU_DEP_3)
	v_lshlrev_b64_e32 v[8:9], 3, v[8:9]
	v_mov_b32_e32 v11, v19
	v_mov_b32_e32 v17, v10
	s_delay_alu instid0(VALU_DEP_3) | instskip(SKIP_1) | instid1(VALU_DEP_4)
	v_add_co_u32 v8, s0, v33, v8
	s_wait_alu 0xf1ff
	v_add_co_ci_u32_e64 v9, s0, v41, v9, s0
	v_add_co_u32 v6, s0, v33, v6
	s_wait_alu 0xf1ff
	v_add_co_ci_u32_e64 v7, s0, v41, v7, s0
	v_mad_co_u64_u32 v[10:11], null, s9, v12, v[11:12]
	s_clause 0x3
	global_load_b64 v[2:3], v[2:3], off
	global_load_b64 v[14:15], v[4:5], off
	;; [unrolled: 1-line block ×4, first 2 shown]
	v_dual_mov_b32 v8, v21 :: v_dual_mov_b32 v9, v23
	v_lshlrev_b64_e32 v[6:7], 3, v[16:17]
	v_mov_b32_e32 v19, v10
	s_delay_alu instid0(VALU_DEP_3) | instskip(SKIP_1) | instid1(VALU_DEP_4)
	v_mad_co_u64_u32 v[10:11], null, s9, v48, v[8:9]
	v_add_nc_u32_e32 v11, 0x1f8, v47
	v_add_co_u32 v6, s0, v33, v6
	s_delay_alu instid0(VALU_DEP_4)
	v_lshlrev_b64_e32 v[16:17], 3, v[18:19]
	s_wait_alu 0xf1ff
	v_add_co_ci_u32_e64 v7, s0, v41, v7, s0
	v_mad_co_u64_u32 v[8:9], null, s9, v24, v[9:10]
	v_mad_co_u64_u32 v[24:25], null, s8, v26, 0
	v_mad_co_u64_u32 v[28:29], null, s8, v11, 0
	v_add_co_u32 v9, s0, v33, v16
	s_delay_alu instid0(VALU_DEP_3) | instskip(NEXT) | instid1(VALU_DEP_1)
	v_dual_mov_b32 v23, v8 :: v_dual_mov_b32 v8, v25
	v_lshlrev_b64_e32 v[18:19], 3, v[22:23]
	v_mad_co_u64_u32 v[22:23], null, s8, v35, 0
	v_mov_b32_e32 v21, v10
	s_wait_alu 0xf1ff
	v_add_co_ci_u32_e64 v10, s0, v41, v17, s0
	s_delay_alu instid0(VALU_DEP_2) | instskip(SKIP_2) | instid1(VALU_DEP_3)
	v_lshlrev_b64_e32 v[16:17], 3, v[20:21]
	v_mad_co_u64_u32 v[20:21], null, s9, v26, v[8:9]
	v_mov_b32_e32 v8, v23
	v_add_co_u32 v16, s0, v33, v16
	s_delay_alu instid0(VALU_DEP_2)
	v_mad_co_u64_u32 v[30:31], null, s9, v35, v[8:9]
	s_wait_alu 0xf1ff
	v_add_co_ci_u32_e64 v17, s0, v41, v17, s0
	v_mov_b32_e32 v25, v20
	v_add_nc_u32_e32 v31, 0x333, v47
	v_add_co_u32 v26, s0, v33, v18
	s_wait_alu 0xf1ff
	v_add_co_ci_u32_e64 v27, s0, v41, v19, s0
	s_clause 0x3
	global_load_b64 v[18:19], v[6:7], off
	global_load_b64 v[20:21], v[9:10], off
	;; [unrolled: 1-line block ×4, first 2 shown]
	v_lshlrev_b64_e32 v[8:9], 3, v[24:25]
	v_mov_b32_e32 v10, v29
	v_mad_co_u64_u32 v[24:25], null, s8, v31, 0
	v_mad_co_u64_u32 v[26:27], null, s8, v34, 0
	s_delay_alu instid0(VALU_DEP_3)
	v_mad_co_u64_u32 v[10:11], null, s9, v11, v[10:11]
	v_mov_b32_e32 v23, v30
	v_add_co_u32 v8, s0, v33, v8
	v_mov_b32_e32 v11, v25
	s_wait_alu 0xf1ff
	v_add_co_ci_u32_e64 v9, s0, v41, v9, s0
	v_mov_b32_e32 v29, v10
	v_lshlrev_b64_e32 v[22:23], 3, v[22:23]
	s_delay_alu instid0(VALU_DEP_2) | instskip(NEXT) | instid1(VALU_DEP_2)
	v_lshlrev_b64_e32 v[28:29], 3, v[28:29]
	v_add_co_u32 v22, s0, v33, v22
	s_wait_alu 0xf1ff
	s_delay_alu instid0(VALU_DEP_3) | instskip(NEXT) | instid1(VALU_DEP_3)
	v_add_co_ci_u32_e64 v23, s0, v41, v23, s0
	v_add_co_u32 v28, s0, v33, v28
	s_wait_alu 0xf1ff
	v_add_co_ci_u32_e64 v29, s0, v41, v29, s0
	s_wait_loadcnt 0x5
	v_mad_co_u64_u32 v[10:11], null, s9, v31, v[11:12]
	v_mad_co_u64_u32 v[30:31], null, s8, v39, 0
	v_mov_b32_e32 v11, v27
	s_delay_alu instid0(VALU_DEP_3) | instskip(NEXT) | instid1(VALU_DEP_2)
	v_mov_b32_e32 v25, v10
	v_mad_co_u64_u32 v[36:37], null, s9, v34, v[11:12]
	v_mad_co_u64_u32 v[37:38], null, s8, v40, 0
	v_mov_b32_e32 v11, v31
	s_delay_alu instid0(VALU_DEP_4) | instskip(NEXT) | instid1(VALU_DEP_4)
	v_lshlrev_b64_e32 v[24:25], 3, v[24:25]
	v_mov_b32_e32 v27, v36
	s_delay_alu instid0(VALU_DEP_3) | instskip(SKIP_1) | instid1(VALU_DEP_3)
	v_mad_co_u64_u32 v[10:11], null, s9, v39, v[11:12]
	v_mov_b32_e32 v11, v38
	v_lshlrev_b64_e32 v[26:27], 3, v[26:27]
	s_delay_alu instid0(VALU_DEP_2) | instskip(NEXT) | instid1(VALU_DEP_4)
	v_mad_co_u64_u32 v[38:39], null, s9, v40, v[11:12]
	v_mov_b32_e32 v31, v10
	v_add_co_u32 v10, s0, v33, v24
	s_wait_alu 0xf1ff
	v_add_co_ci_u32_e64 v11, s0, v41, v25, s0
	s_delay_alu instid0(VALU_DEP_3) | instskip(SKIP_4) | instid1(VALU_DEP_4)
	v_lshlrev_b64_e32 v[24:25], 3, v[30:31]
	v_add_co_u32 v39, s0, v33, v26
	s_wait_alu 0xf1ff
	v_add_co_ci_u32_e64 v40, s0, v41, v27, s0
	v_lshlrev_b64_e32 v[26:27], 3, v[37:38]
	v_add_co_u32 v24, s0, v33, v24
	s_wait_alu 0xf1ff
	v_add_co_ci_u32_e64 v25, s0, v41, v25, s0
	s_delay_alu instid0(VALU_DEP_3)
	v_add_co_u32 v36, s0, v33, v26
	s_wait_alu 0xf1ff
	v_add_co_ci_u32_e64 v37, s0, v41, v27, s0
	s_clause 0x6
	global_load_b64 v[30:31], v[8:9], off
	global_load_b64 v[8:9], v[22:23], off
	global_load_b64 v[28:29], v[28:29], off
	global_load_b64 v[26:27], v[10:11], off
	global_load_b64 v[10:11], v[39:40], off
	global_load_b64 v[24:25], v[24:25], off
	global_load_b64 v[22:23], v[36:37], off
	v_mov_b32_e32 v33, v32
.LBB0_13:
	s_or_b32 exec_lo, exec_lo, s1
	v_dual_add_f32 v36, v14, v12 :: v_dual_add_f32 v39, v15, v13
	v_dual_add_f32 v37, v2, v14 :: v_dual_sub_f32 v38, v15, v13
	v_sub_f32_e32 v14, v14, v12
	s_delay_alu instid0(VALU_DEP_3) | instskip(NEXT) | instid1(VALU_DEP_3)
	v_dual_fmac_f32 v2, -0.5, v36 :: v_dual_add_f32 v15, v3, v15
	v_dual_add_f32 v36, v37, v12 :: v_dual_fmac_f32 v3, -0.5, v39
	s_wait_loadcnt 0x9
	v_add_f32_e32 v12, v18, v20
	s_delay_alu instid0(VALU_DEP_3)
	v_fmamk_f32 v37, v38, 0xbf5db3d7, v2
	v_fmac_f32_e32 v2, 0x3f5db3d7, v38
	v_dual_add_f32 v38, v15, v13 :: v_dual_add_f32 v13, v18, v4
	v_add_f32_e32 v15, v19, v5
	v_fmamk_f32 v39, v14, 0x3f5db3d7, v3
	v_dual_fmac_f32 v3, 0xbf5db3d7, v14 :: v_dual_add_f32 v14, v19, v21
	s_delay_alu instid0(VALU_DEP_4) | instskip(SKIP_2) | instid1(VALU_DEP_3)
	v_dual_fmac_f32 v4, -0.5, v12 :: v_dual_add_f32 v13, v20, v13
	s_wait_loadcnt 0x7
	v_dual_add_f32 v40, v21, v15 :: v_dual_add_f32 v15, v16, v6
	v_dual_sub_f32 v12, v19, v21 :: v_dual_fmac_f32 v5, -0.5, v14
	v_dual_sub_f32 v14, v18, v20 :: v_dual_and_b32 v63, 0xffff, v34
	s_wait_loadcnt 0x6
	s_delay_alu instid0(VALU_DEP_2) | instskip(NEXT) | instid1(VALU_DEP_2)
	v_dual_add_f32 v15, v30, v15 :: v_dual_fmamk_f32 v18, v12, 0xbf5db3d7, v4
	v_dual_fmac_f32 v4, 0x3f5db3d7, v12 :: v_dual_fmamk_f32 v41, v14, 0x3f5db3d7, v5
	v_add_f32_e32 v12, v16, v30
	v_dual_fmac_f32 v5, 0xbf5db3d7, v14 :: v_dual_add_f32 v14, v17, v31
	v_cmp_gt_u32_e64 s0, 9, v47
	s_wait_loadcnt 0x4
	s_delay_alu instid0(VALU_DEP_3) | instskip(SKIP_4) | instid1(VALU_DEP_2)
	v_dual_add_f32 v19, v9, v29 :: v_dual_fmac_f32 v6, -0.5, v12
	v_sub_f32_e32 v12, v17, v31
	v_add_f32_e32 v17, v17, v7
	s_wait_loadcnt 0x1
	v_add_f32_e32 v21, v25, v11
	v_add_f32_e32 v31, v31, v17
	;; [unrolled: 1-line block ×3, first 2 shown]
	v_fmac_f32_e32 v7, -0.5, v14
	s_delay_alu instid0(VALU_DEP_2) | instskip(SKIP_1) | instid1(VALU_DEP_2)
	v_dual_sub_f32 v14, v16, v30 :: v_dual_add_f32 v17, v26, v17
	v_fmamk_f32 v16, v12, 0xbf5db3d7, v6
	v_fmamk_f32 v42, v14, 0x3f5db3d7, v7
	v_dual_fmac_f32 v7, 0xbf5db3d7, v14 :: v_dual_add_f32 v14, v27, v29
	v_fmac_f32_e32 v6, 0x3f5db3d7, v12
	s_delay_alu instid0(VALU_DEP_2) | instskip(SKIP_1) | instid1(VALU_DEP_2)
	v_dual_add_f32 v12, v26, v28 :: v_dual_fmac_f32 v9, -0.5, v14
	v_sub_f32_e32 v14, v28, v26
	v_fmac_f32_e32 v8, -0.5, v12
	v_sub_f32_e32 v12, v29, v27
	v_dual_add_f32 v26, v27, v19 :: v_dual_add_f32 v19, v24, v10
	s_delay_alu instid0(VALU_DEP_4) | instskip(SKIP_4) | instid1(VALU_DEP_3)
	v_fmamk_f32 v27, v14, 0x3f5db3d7, v9
	s_wait_loadcnt 0x0
	v_dual_fmac_f32 v9, 0xbf5db3d7, v14 :: v_dual_add_f32 v14, v23, v25
	v_fmamk_f32 v20, v12, 0xbf5db3d7, v8
	v_dual_fmac_f32 v8, 0x3f5db3d7, v12 :: v_dual_add_f32 v19, v22, v19
	v_fmac_f32_e32 v11, -0.5, v14
	v_sub_f32_e32 v14, v24, v22
	v_add_f32_e32 v12, v22, v24
	v_mad_u32_u24 v24, v47, 12, 0
	ds_store_2addr_b32 v24, v36, v37 offset1:1
	ds_store_b32 v24, v2 offset:8
	v_fmamk_f32 v43, v14, 0x3f5db3d7, v11
	v_dual_fmac_f32 v11, 0xbf5db3d7, v14 :: v_dual_fmac_f32 v10, -0.5, v12
	v_sub_f32_e32 v12, v25, v23
	v_mad_i32_i24 v2, v48, 12, 0
	v_mad_i32_i24 v37, v34, 12, 0
	;; [unrolled: 1-line block ×3, first 2 shown]
	s_delay_alu instid0(VALU_DEP_4)
	v_dual_add_f32 v25, v23, v21 :: v_dual_fmamk_f32 v22, v12, 0xbf5db3d7, v10
	v_fmac_f32_e32 v10, 0x3f5db3d7, v12
	v_mad_i32_i24 v12, v33, 12, 0
	ds_store_2addr_b32 v12, v13, v18 offset1:1
	ds_store_b32 v12, v4 offset:8
	v_lshlrev_b32_e32 v4, 3, v47
	ds_store_2addr_b32 v2, v15, v16 offset1:1
	ds_store_b32 v2, v6 offset:8
	ds_store_2addr_b32 v36, v17, v20 offset1:1
	ds_store_b32 v36, v8 offset:8
	;; [unrolled: 2-line block ×3, first 2 shown]
	global_wb scope:SCOPE_SE
	s_wait_dscnt 0x0
	s_barrier_signal -1
	v_sub_nc_u32_e32 v13, v24, v4
	s_barrier_wait -1
	global_inv scope:SCOPE_SE
	v_lshlrev_b32_e32 v8, 3, v35
	v_lshlrev_b32_e32 v17, 3, v34
	v_add_nc_u32_e32 v10, 0x400, v13
	v_add_nc_u32_e32 v14, 0x800, v13
	ds_load_2addr_b32 v[29:30], v10 offset0:59 offset1:122
	ds_load_2addr_b32 v[44:45], v14 offset0:55 offset1:118
	v_lshlrev_b32_e32 v4, 3, v33
	v_lshlrev_b32_e32 v28, 3, v48
	ds_load_2addr_b32 v[57:58], v14 offset0:181 offset1:244
	v_add_nc_u32_e32 v6, 0xc00, v13
	v_sub_nc_u32_e32 v8, v36, v8
	v_sub_nc_u32_e32 v15, v12, v4
	;; [unrolled: 1-line block ×4, first 2 shown]
	ds_load_2addr_b32 v[59:60], v10 offset0:185 offset1:248
	ds_load_2addr_b32 v[61:62], v6 offset0:51 offset1:114
	ds_load_b32 v23, v13
	ds_load_b32 v22, v15
	;; [unrolled: 1-line block ×5, first 2 shown]
	global_wb scope:SCOPE_SE
	s_wait_dscnt 0x0
	s_barrier_signal -1
	s_barrier_wait -1
	global_inv scope:SCOPE_SE
	ds_store_2addr_b32 v24, v38, v39 offset1:1
	ds_store_b32 v24, v3 offset:8
	ds_store_2addr_b32 v12, v40, v41 offset1:1
	ds_store_b32 v12, v5 offset:8
	v_and_b32_e32 v18, 0xff, v47
	v_and_b32_e32 v5, 0xff, v33
	ds_store_2addr_b32 v2, v31, v42 offset1:1
	ds_store_b32 v2, v7 offset:8
	ds_store_2addr_b32 v36, v26, v27 offset1:1
	ds_store_b32 v36, v9 offset:8
	;; [unrolled: 2-line block ×3, first 2 shown]
	v_and_b32_e32 v31, 0xff, v35
	v_mul_lo_u16 v3, 0xab, v18
	v_mul_lo_u16 v7, 0xab, v5
	global_wb scope:SCOPE_SE
	s_wait_dscnt 0x0
	s_barrier_signal -1
	s_barrier_wait -1
	v_lshrrev_b16 v9, 9, v3
	v_lshrrev_b16 v7, 9, v7
	v_and_b32_e32 v3, 0xff, v48
	global_inv scope:SCOPE_SE
	v_mul_lo_u16 v64, v18, 57
	v_mul_lo_u16 v11, v9, 3
	;; [unrolled: 1-line block ×6, first 2 shown]
	v_sub_nc_u16 v11, v47, v11
	v_sub_nc_u16 v24, v33, v24
	v_lshrrev_b16 v46, 9, v25
	v_mul_lo_u16 v25, 0xab, v31
	v_lshrrev_b16 v79, 9, v64
	v_and_b32_e32 v11, 0xff, v11
	v_and_b32_e32 v73, 0xff, v24
	v_mul_lo_u16 v24, v46, 3
	v_lshrrev_b16 v74, 9, v25
	v_mul_u32_u24_e32 v25, 0xaaab, v63
	v_lshlrev_b32_e32 v26, 4, v11
	v_lshlrev_b32_e32 v36, 4, v73
	v_sub_nc_u16 v40, v48, v24
	v_mul_lo_u16 v41, v74, 3
	v_lshrrev_b32_e32 v75, 17, v25
	s_clause 0x1
	global_load_b128 v[24:27], v26, s[4:5]
	global_load_b128 v[36:39], v36, s[4:5]
	v_mul_u32_u24_e32 v63, 0xe38f, v63
	v_and_b32_e32 v76, 0xff, v40
	v_sub_nc_u16 v40, v35, v41
	v_mul_lo_u16 v41, v75, 3
	v_lshrrev_b16 v80, 9, v65
	v_lshrrev_b16 v81, 9, v66
	v_lshlrev_b32_e32 v42, 4, v76
	v_and_b32_e32 v77, 0xff, v40
	v_sub_nc_u16 v49, v34, v41
	v_lshrrev_b32_e32 v82, 19, v63
	v_and_b32_e32 v9, 0xffff, v9
	global_load_b128 v[40:43], v42, s[4:5]
	v_lshlrev_b32_e32 v50, 4, v77
	v_and_b32_e32 v78, 0xffff, v49
	v_and_b32_e32 v46, 0xffff, v46
	v_mul_u32_u24_e32 v9, 36, v9
	v_lshlrev_b32_e32 v11, 2, v11
	global_load_b128 v[49:52], v50, s[4:5]
	v_lshlrev_b32_e32 v53, 4, v78
	v_mul_u32_u24_e32 v46, 36, v46
	v_lshlrev_b32_e32 v76, 2, v76
	v_and_b32_e32 v74, 0xffff, v74
	v_add3_u32 v9, 0, v9, v11
	global_load_b128 v[53:56], v53, s[4:5]
	ds_load_2addr_b32 v[63:64], v10 offset0:59 offset1:122
	ds_load_2addr_b32 v[65:66], v14 offset0:55 offset1:118
	;; [unrolled: 1-line block ×5, first 2 shown]
	ds_load_b32 v83, v13
	ds_load_b32 v84, v15
	;; [unrolled: 1-line block ×5, first 2 shown]
	v_add3_u32 v11, 0, v46, v76
	v_mul_u32_u24_e32 v74, 36, v74
	v_mul_lo_u16 v31, v31, 57
	v_mul_u32_u24_e32 v75, 36, v75
	v_mul_lo_u16 v88, v79, 9
	v_mul_lo_u16 v89, v80, 9
	v_lshlrev_b32_e32 v73, 2, v73
	v_lshrrev_b16 v31, 9, v31
	v_mul_lo_u16 v90, v81, 9
	v_sub_nc_u16 v88, v47, v88
	v_sub_nc_u16 v89, v33, v89
	v_mul_lo_u16 v92, v82, 9
	v_mul_lo_u16 v91, v31, 9
	v_sub_nc_u16 v90, v48, v90
	global_wb scope:SCOPE_SE
	s_wait_loadcnt_dscnt 0x0
	s_barrier_signal -1
	s_barrier_wait -1
	v_sub_nc_u16 v35, v35, v91
	global_inv scope:SCOPE_SE
	v_mul_lo_u16 v5, v5, 19
	v_mul_lo_u16 v3, v3, 19
	s_delay_alu instid0(VALU_DEP_2) | instskip(NEXT) | instid1(VALU_DEP_2)
	v_lshrrev_b16 v5, 9, v5
	v_lshrrev_b16 v3, 9, v3
	v_dual_mul_f32 v76, v64, v37 :: v_dual_and_b32 v7, 0xffff, v7
	v_mul_f32_e32 v37, v30, v37
	s_delay_alu instid0(VALU_DEP_2) | instskip(NEXT) | instid1(VALU_DEP_3)
	v_fmac_f32_e32 v76, v30, v36
	v_mul_u32_u24_e32 v7, 36, v7
	s_delay_alu instid0(VALU_DEP_3) | instskip(NEXT) | instid1(VALU_DEP_2)
	v_fma_f32 v36, v64, v36, -v37
	v_add3_u32 v7, 0, v7, v73
	v_dual_mul_f32 v30, v68, v43 :: v_dual_lshlrev_b32 v77, 2, v77
	s_delay_alu instid0(VALU_DEP_1) | instskip(NEXT) | instid1(VALU_DEP_2)
	v_fmac_f32_e32 v30, v58, v42
	v_add3_u32 v46, 0, v74, v77
	v_mul_f32_e32 v74, v63, v25
	v_mul_f32_e32 v25, v29, v25
	s_delay_alu instid0(VALU_DEP_2) | instskip(SKIP_1) | instid1(VALU_DEP_3)
	v_dual_mul_f32 v37, v70, v50 :: v_dual_fmac_f32 v74, v29, v24
	v_dual_mul_f32 v29, v69, v41 :: v_dual_and_b32 v88, 0xff, v88
	v_fma_f32 v24, v63, v24, -v25
	s_delay_alu instid0(VALU_DEP_3) | instskip(NEXT) | instid1(VALU_DEP_3)
	v_fmac_f32_e32 v37, v60, v49
	v_dual_fmac_f32 v29, v59, v40 :: v_dual_lshlrev_b32 v78, 2, v78
	s_delay_alu instid0(VALU_DEP_1) | instskip(SKIP_2) | instid1(VALU_DEP_2)
	v_add3_u32 v73, 0, v75, v78
	v_mul_f32_e32 v75, v66, v27
	v_mul_f32_e32 v27, v45, v27
	v_fmac_f32_e32 v75, v45, v26
	s_delay_alu instid0(VALU_DEP_2) | instskip(SKIP_3) | instid1(VALU_DEP_3)
	v_fma_f32 v25, v66, v26, -v27
	v_dual_mul_f32 v26, v67, v39 :: v_dual_and_b32 v89, 0xff, v89
	v_mul_f32_e32 v27, v57, v39
	v_mul_f32_e32 v39, v59, v41
	v_dual_mul_f32 v41, v58, v43 :: v_dual_fmac_f32 v26, v57, v38
	v_mul_f32_e32 v45, v61, v52
	v_lshlrev_b32_e32 v93, 4, v89
	v_mul_f32_e32 v43, v60, v50
	v_fma_f32 v27, v67, v38, -v27
	v_mul_f32_e32 v38, v71, v52
	v_mul_f32_e32 v50, v65, v54
	;; [unrolled: 1-line block ×4, first 2 shown]
	v_fma_f32 v39, v69, v40, -v39
	v_fma_f32 v40, v68, v42, -v41
	;; [unrolled: 1-line block ×3, first 2 shown]
	v_add_f32_e32 v45, v23, v74
	v_lshlrev_b32_e32 v91, 4, v88
	v_dual_mul_f32 v56, v62, v56 :: v_dual_sub_f32 v59, v76, v26
	v_fma_f32 v41, v70, v49, -v43
	v_fmac_f32_e32 v38, v61, v51
	v_dual_fmac_f32 v50, v44, v53 :: v_dual_add_f32 v63, v85, v39
	v_dual_add_f32 v61, v29, v30 :: v_dual_fmac_f32 v54, v62, v55
	v_fma_f32 v43, v65, v53, -v52
	v_fma_f32 v44, v72, v55, -v56
	v_add_f32_e32 v49, v74, v75
	v_dual_sub_f32 v51, v24, v25 :: v_dual_sub_f32 v62, v39, v40
	v_add_f32_e32 v45, v45, v75
	v_add_f32_e32 v39, v39, v40
	v_dual_add_f32 v52, v83, v24 :: v_dual_add_f32 v65, v37, v38
	v_add_f32_e32 v24, v24, v25
	v_dual_add_f32 v56, v76, v26 :: v_dual_add_f32 v67, v86, v41
	v_sub_f32_e32 v57, v36, v27
	v_add_f32_e32 v58, v84, v36
	v_dual_add_f32 v60, v21, v29 :: v_dual_add_f32 v71, v87, v43
	v_dual_sub_f32 v29, v29, v30 :: v_dual_add_f32 v36, v36, v27
	v_add_f32_e32 v69, v50, v54
	v_dual_add_f32 v55, v22, v76 :: v_dual_sub_f32 v66, v41, v42
	v_fmac_f32_e32 v23, -0.5, v49
	v_add_f32_e32 v41, v41, v42
	v_dual_sub_f32 v53, v74, v75 :: v_dual_and_b32 v90, 0xff, v90
	v_add_f32_e32 v64, v20, v37
	v_dual_add_f32 v68, v19, v50 :: v_dual_add_f32 v25, v52, v25
	v_sub_f32_e32 v70, v43, v44
	v_dual_add_f32 v43, v43, v44 :: v_dual_sub_f32 v50, v50, v54
	v_fmac_f32_e32 v83, -0.5, v24
	v_dual_fmac_f32 v22, -0.5, v56 :: v_dual_fmac_f32 v85, -0.5, v39
	v_dual_fmac_f32 v84, -0.5, v36 :: v_dual_fmac_f32 v19, -0.5, v69
	v_sub_f32_e32 v37, v37, v38
	v_dual_add_f32 v24, v55, v26 :: v_dual_fmac_f32 v21, -0.5, v61
	v_fmac_f32_e32 v20, -0.5, v65
	v_fmac_f32_e32 v86, -0.5, v41
	v_dual_add_f32 v26, v58, v27 :: v_dual_add_f32 v39, v68, v54
	v_dual_add_f32 v27, v60, v30 :: v_dual_add_f32 v36, v63, v40
	v_dual_fmac_f32 v87, -0.5, v43 :: v_dual_add_f32 v30, v64, v38
	v_fmamk_f32 v41, v51, 0xbf5db3d7, v23
	v_add_f32_e32 v38, v67, v42
	v_fmamk_f32 v42, v53, 0x3f5db3d7, v83
	v_fmac_f32_e32 v23, 0x3f5db3d7, v51
	v_dual_fmac_f32 v83, 0xbf5db3d7, v53 :: v_dual_add_f32 v40, v71, v44
	v_fmamk_f32 v43, v57, 0xbf5db3d7, v22
	v_fmamk_f32 v44, v59, 0x3f5db3d7, v84
	v_fmac_f32_e32 v22, 0x3f5db3d7, v57
	v_dual_fmac_f32 v84, 0xbf5db3d7, v59 :: v_dual_fmamk_f32 v49, v62, 0xbf5db3d7, v21
	v_fmac_f32_e32 v21, 0x3f5db3d7, v62
	v_fmamk_f32 v57, v29, 0x3f5db3d7, v85
	v_fmac_f32_e32 v85, 0xbf5db3d7, v29
	v_fmamk_f32 v29, v66, 0xbf5db3d7, v20
	v_dual_fmac_f32 v20, 0x3f5db3d7, v66 :: v_dual_fmamk_f32 v59, v50, 0x3f5db3d7, v87
	v_fmamk_f32 v58, v37, 0x3f5db3d7, v86
	v_dual_fmac_f32 v86, 0xbf5db3d7, v37 :: v_dual_fmamk_f32 v37, v70, 0xbf5db3d7, v19
	v_fmac_f32_e32 v19, 0x3f5db3d7, v70
	v_dual_fmac_f32 v87, 0xbf5db3d7, v50 :: v_dual_lshlrev_b32 v62, 2, v88
	ds_store_2addr_b32 v9, v45, v41 offset1:3
	ds_store_b32 v9, v23 offset:24
	ds_store_2addr_b32 v7, v24, v43 offset1:3
	ds_store_b32 v7, v22 offset:24
	;; [unrolled: 2-line block ×5, first 2 shown]
	global_wb scope:SCOPE_SE
	s_wait_dscnt 0x0
	s_barrier_signal -1
	s_barrier_wait -1
	global_inv scope:SCOPE_SE
	ds_load_2addr_b32 v[29:30], v10 offset0:59 offset1:122
	ds_load_2addr_b32 v[49:50], v14 offset0:55 offset1:118
	;; [unrolled: 1-line block ×5, first 2 shown]
	ds_load_b32 v27, v13
	ds_load_b32 v67, v15
	ds_load_b32 v68, v16
	ds_load_b32 v69, v8
	ds_load_b32 v70, v17
	global_wb scope:SCOPE_SE
	s_wait_dscnt 0x0
	s_barrier_signal -1
	s_barrier_wait -1
	global_inv scope:SCOPE_SE
	ds_store_2addr_b32 v9, v25, v42 offset1:3
	ds_store_b32 v9, v83 offset:24
	ds_store_2addr_b32 v7, v26, v44 offset1:3
	ds_store_b32 v7, v84 offset:24
	;; [unrolled: 2-line block ×5, first 2 shown]
	global_wb scope:SCOPE_SE
	s_wait_dscnt 0x0
	s_barrier_signal -1
	s_barrier_wait -1
	global_inv scope:SCOPE_SE
	global_load_b128 v[19:22], v91, s[4:5] offset:48
	v_and_b32_e32 v7, 0xff, v35
	v_lshlrev_b32_e32 v9, 4, v90
	v_sub_nc_u16 v11, v34, v92
	global_load_b128 v[23:26], v93, s[4:5] offset:48
	v_and_b32_e32 v57, 0xffff, v81
	v_lshlrev_b32_e32 v38, 4, v7
	global_load_b128 v[34:37], v9, s[4:5] offset:48
	v_mul_lo_u16 v59, v5, 27
	v_mul_u32_u24_e32 v65, 0x6c, v82
	v_mul_u32_u24_e32 v61, 0x6c, v57
	global_load_b128 v[38:41], v38, s[4:5] offset:48
	v_and_b32_e32 v9, 0xffff, v11
	v_sub_nc_u16 v59, v33, v59
	v_and_b32_e32 v46, 0xffff, v80
	v_mul_lo_u16 v71, v3, 27
	s_delay_alu instid0(VALU_DEP_4) | instskip(NEXT) | instid1(VALU_DEP_3)
	v_lshlrev_b32_e32 v11, 4, v9
	v_mul_u32_u24_e32 v46, 0x6c, v46
	global_load_b128 v[42:45], v11, s[4:5] offset:48
	v_mul_lo_u16 v11, v18, 19
	v_and_b32_e32 v91, 0xff, v59
	ds_load_2addr_b32 v[59:60], v14 offset0:55 offset1:118
	v_lshlrev_b32_e32 v63, 2, v89
	v_lshrrev_b16 v11, 9, v11
	s_delay_alu instid0(VALU_DEP_1) | instskip(NEXT) | instid1(VALU_DEP_1)
	v_mul_lo_u16 v58, v11, 27
	v_sub_nc_u16 v58, v47, v58
	s_delay_alu instid0(VALU_DEP_1) | instskip(SKIP_4) | instid1(VALU_DEP_2)
	v_and_b32_e32 v87, 0xff, v58
	ds_load_2addr_b32 v[57:58], v10 offset0:59 offset1:122
	v_and_b32_e32 v18, 0xffff, v79
	s_wait_loadcnt_dscnt 0x400
	v_dual_mul_f32 v77, v57, v20 :: v_dual_lshlrev_b32 v64, 2, v90
	v_mul_u32_u24_e32 v18, 0x6c, v18
	v_mul_f32_e32 v20, v29, v20
	s_wait_loadcnt 0x3
	v_dual_mul_f32 v78, v60, v22 :: v_dual_mul_f32 v79, v58, v24
	v_add3_u32 v73, 0, v61, v64
	v_add3_u32 v18, 0, v18, v62
	ds_load_2addr_b32 v[61:62], v14 offset0:181 offset1:244
	v_dual_mul_f32 v22, v50, v22 :: v_dual_fmac_f32 v77, v29, v19
	v_fma_f32 v19, v57, v19, -v20
	v_and_b32_e32 v31, 0xffff, v31
	v_lshlrev_b32_e32 v7, 2, v7
	s_delay_alu instid0(VALU_DEP_4) | instskip(SKIP_3) | instid1(VALU_DEP_3)
	v_fma_f32 v20, v60, v21, -v22
	v_mul_f32_e32 v24, v30, v24
	v_fmac_f32_e32 v78, v50, v21
	v_fmac_f32_e32 v79, v30, v23
	v_fma_f32 v23, v58, v23, -v24
	s_wait_loadcnt 0x0
	v_mul_f32_e32 v22, v49, v43
	v_add3_u32 v46, 0, v46, v63
	ds_load_2addr_b32 v[63:64], v10 offset0:185 offset1:248
	s_wait_dscnt 0x1
	v_mul_f32_e32 v80, v61, v26
	v_mul_u32_u24_e32 v31, 0x6c, v31
	v_mul_f32_e32 v82, v62, v37
	v_dual_mul_f32 v26, v51, v26 :: v_dual_lshlrev_b32 v9, 2, v9
	s_delay_alu instid0(VALU_DEP_4) | instskip(NEXT) | instid1(VALU_DEP_4)
	v_fmac_f32_e32 v80, v51, v25
	v_add3_u32 v7, 0, v31, v7
	s_delay_alu instid0(VALU_DEP_4) | instskip(NEXT) | instid1(VALU_DEP_4)
	v_fmac_f32_e32 v82, v52, v36
	v_add3_u32 v9, 0, v65, v9
	ds_load_2addr_b32 v[65:66], v6 offset0:51 offset1:114
	ds_load_b32 v31, v13
	ds_load_b32 v74, v15
	;; [unrolled: 1-line block ×5, first 2 shown]
	v_fma_f32 v24, v61, v25, -v26
	v_dual_mul_f32 v37, v52, v37 :: v_dual_lshlrev_b32 v72, 5, v87
	v_fma_f32 v22, v59, v42, -v22
	global_wb scope:SCOPE_SE
	s_wait_dscnt 0x0
	s_barrier_signal -1
	s_barrier_wait -1
	v_mul_f32_e32 v81, v63, v35
	v_mul_f32_e32 v35, v53, v35
	;; [unrolled: 1-line block ×3, first 2 shown]
	v_fma_f32 v26, v62, v36, -v37
	global_inv scope:SCOPE_SE
	v_fma_f32 v25, v63, v34, -v35
	v_dual_mul_f32 v84, v65, v41 :: v_dual_mul_f32 v39, v54, v39
	s_delay_alu instid0(VALU_DEP_2) | instskip(SKIP_1) | instid1(VALU_DEP_3)
	v_dual_fmac_f32 v81, v53, v34 :: v_dual_add_f32 v52, v75, v25
	v_mul_f32_e32 v21, v59, v43
	v_dual_mul_f32 v43, v56, v45 :: v_dual_fmac_f32 v84, v55, v40
	s_delay_alu instid0(VALU_DEP_4) | instskip(NEXT) | instid1(VALU_DEP_4)
	v_fma_f32 v30, v64, v38, -v39
	v_add_f32_e32 v50, v81, v82
	s_delay_alu instid0(VALU_DEP_4)
	v_fmac_f32_e32 v21, v49, v42
	v_dual_fmac_f32 v83, v54, v38 :: v_dual_sub_f32 v38, v19, v20
	v_mul_f32_e32 v41, v55, v41
	v_add_f32_e32 v36, v27, v77
	v_dual_mul_f32 v29, v66, v45 :: v_dual_add_f32 v42, v79, v80
	v_fma_f32 v35, v66, v44, -v43
	s_delay_alu instid0(VALU_DEP_4) | instskip(SKIP_1) | instid1(VALU_DEP_4)
	v_fma_f32 v34, v65, v40, -v41
	v_add_f32_e32 v37, v77, v78
	v_fmac_f32_e32 v29, v56, v44
	v_dual_sub_f32 v43, v23, v24 :: v_dual_add_f32 v36, v36, v78
	v_dual_add_f32 v44, v74, v23 :: v_dual_add_f32 v23, v23, v24
	v_dual_add_f32 v39, v31, v19 :: v_dual_sub_f32 v56, v30, v34
	v_dual_add_f32 v19, v19, v20 :: v_dual_sub_f32 v40, v77, v78
	v_dual_add_f32 v41, v67, v79 :: v_dual_add_f32 v62, v17, v22
	s_delay_alu instid0(VALU_DEP_3)
	v_dual_add_f32 v49, v68, v81 :: v_dual_add_f32 v20, v39, v20
	v_sub_f32_e32 v61, v22, v35
	v_add_f32_e32 v22, v22, v35
	v_dual_fmac_f32 v68, -0.5, v50 :: v_dual_sub_f32 v45, v79, v80
	v_dual_fmac_f32 v74, -0.5, v23 :: v_dual_fmac_f32 v27, -0.5, v37
	v_add_f32_e32 v57, v76, v30
	v_add_f32_e32 v30, v30, v34
	v_dual_add_f32 v60, v21, v29 :: v_dual_fmac_f32 v31, -0.5, v19
	v_dual_sub_f32 v51, v25, v26 :: v_dual_add_f32 v24, v44, v24
	v_add_f32_e32 v54, v69, v83
	v_dual_sub_f32 v58, v83, v84 :: v_dual_add_f32 v59, v70, v21
	v_fmac_f32_e32 v76, -0.5, v30
	v_add_f32_e32 v25, v25, v26
	v_fmac_f32_e32 v17, -0.5, v22
	v_dual_fmamk_f32 v22, v38, 0xbf5db3d7, v27 :: v_dual_add_f32 v55, v83, v84
	v_add_f32_e32 v34, v57, v34
	v_dual_sub_f32 v53, v81, v82 :: v_dual_fmac_f32 v70, -0.5, v60
	v_dual_fmac_f32 v27, 0x3f5db3d7, v38 :: v_dual_fmamk_f32 v38, v45, 0x3f5db3d7, v74
	v_fmac_f32_e32 v74, 0xbf5db3d7, v45
	v_fmamk_f32 v30, v40, 0x3f5db3d7, v31
	v_fmac_f32_e32 v67, -0.5, v42
	v_sub_f32_e32 v21, v21, v29
	v_add_f32_e32 v37, v52, v26
	v_dual_fmac_f32 v69, -0.5, v55 :: v_dual_add_f32 v26, v59, v29
	v_fmac_f32_e32 v75, -0.5, v25
	v_dual_add_f32 v19, v41, v80 :: v_dual_fmamk_f32 v42, v58, 0x3f5db3d7, v76
	v_add_f32_e32 v29, v62, v35
	v_fmac_f32_e32 v31, 0xbf5db3d7, v40
	v_fmamk_f32 v35, v43, 0xbf5db3d7, v67
	v_fmac_f32_e32 v67, 0x3f5db3d7, v43
	v_add_f32_e32 v23, v49, v82
	v_fmamk_f32 v39, v51, 0xbf5db3d7, v68
	v_dual_fmac_f32 v68, 0x3f5db3d7, v51 :: v_dual_add_f32 v25, v54, v84
	v_fmamk_f32 v44, v21, 0x3f5db3d7, v17
	v_fmamk_f32 v41, v56, 0xbf5db3d7, v69
	v_fmac_f32_e32 v69, 0x3f5db3d7, v56
	v_fmac_f32_e32 v76, 0xbf5db3d7, v58
	v_fmamk_f32 v40, v53, 0x3f5db3d7, v75
	v_fmac_f32_e32 v75, 0xbf5db3d7, v53
	v_fmamk_f32 v43, v61, 0xbf5db3d7, v70
	v_fmac_f32_e32 v70, 0x3f5db3d7, v61
	ds_store_2addr_b32 v18, v36, v22 offset1:9
	ds_store_b32 v18, v27 offset:72
	ds_store_2addr_b32 v46, v19, v35 offset1:9
	ds_store_b32 v46, v67 offset:72
	ds_store_2addr_b32 v73, v23, v39 offset1:9
	ds_store_b32 v73, v68 offset:72
	ds_store_2addr_b32 v7, v25, v41 offset1:9
	ds_store_b32 v7, v69 offset:72
	ds_store_2addr_b32 v9, v26, v43 offset1:9
	ds_store_b32 v9, v70 offset:72
	global_wb scope:SCOPE_SE
	s_wait_dscnt 0x0
	s_barrier_signal -1
	s_barrier_wait -1
	global_inv scope:SCOPE_SE
	ds_load_2addr_b32 v[25:26], v13 offset1:252
	ds_load_2addr_b32 v[49:50], v10 offset0:59 offset1:122
	ds_load_2addr_b32 v[53:54], v14 offset0:55 offset1:118
	;; [unrolled: 1-line block ×3, first 2 shown]
	ds_load_b32 v27, v15
	ds_load_2addr_b32 v[81:82], v10 offset0:185 offset1:248
	ds_load_2addr_b32 v[83:84], v6 offset0:51 offset1:114
	ds_load_b32 v39, v8
	ds_load_b32 v58, v16
	v_fmac_f32_e32 v17, 0xbf5db3d7, v21
	global_wb scope:SCOPE_SE
	s_wait_dscnt 0x0
	s_barrier_signal -1
	s_barrier_wait -1
	global_inv scope:SCOPE_SE
	ds_store_2addr_b32 v18, v20, v30 offset1:9
	ds_store_b32 v18, v31 offset:72
	ds_store_2addr_b32 v46, v24, v38 offset1:9
	ds_store_b32 v46, v74 offset:72
	;; [unrolled: 2-line block ×5, first 2 shown]
	global_wb scope:SCOPE_SE
	s_wait_dscnt 0x0
	s_barrier_signal -1
	s_barrier_wait -1
	global_inv scope:SCOPE_SE
	global_load_b128 v[17:20], v72, s[4:5] offset:192
	v_lshlrev_b32_e32 v9, 5, v91
	global_load_b128 v[21:24], v72, s[4:5] offset:208
	v_sub_nc_u16 v7, v48, v71
	v_lshlrev_b32_e32 v36, 2, v91
	v_lshlrev_b32_e32 v34, 2, v87
	global_load_b128 v[40:43], v9, s[4:5] offset:192
	v_add_nc_u32_e32 v30, 0x200, v13
	v_and_b32_e32 v7, 0xff, v7
	s_delay_alu instid0(VALU_DEP_1)
	v_lshlrev_b32_e32 v29, 5, v7
	s_clause 0x2
	global_load_b128 v[67:70], v9, s[4:5] offset:208
	global_load_b128 v[71:74], v29, s[4:5] offset:192
	;; [unrolled: 1-line block ×3, first 2 shown]
	ds_load_2addr_b32 v[89:90], v14 offset0:181 offset1:244
	ds_load_2addr_b32 v[91:92], v10 offset0:185 offset1:248
	;; [unrolled: 1-line block ×3, first 2 shown]
	ds_load_b32 v44, v8
	ds_load_2addr_b32 v[85:86], v10 offset0:59 offset1:122
	s_wait_loadcnt_dscnt 0x501
	v_dual_mul_f32 v62, v44, v18 :: v_dual_lshlrev_b32 v7, 2, v7
	s_wait_loadcnt 0x4
	v_dual_mul_f32 v66, v90, v24 :: v_dual_and_b32 v5, 0xffff, v5
	s_delay_alu instid0(VALU_DEP_2) | instskip(SKIP_2) | instid1(VALU_DEP_3)
	v_fmac_f32_e32 v62, v39, v17
	s_wait_loadcnt 0x3
	v_mul_f32_e32 v52, v91, v43
	v_fmac_f32_e32 v66, v80, v23
	v_and_b32_e32 v9, 0xffff, v11
	v_mul_u32_u24_e32 v5, 0x21c, v5
	s_delay_alu instid0(VALU_DEP_4) | instskip(NEXT) | instid1(VALU_DEP_3)
	v_fmac_f32_e32 v52, v81, v42
	v_mul_u32_u24_e32 v29, 0x21c, v9
	ds_load_2addr_b32 v[8:9], v13 offset1:252
	s_wait_loadcnt 0x1
	v_dual_mul_f32 v38, v92, v74 :: v_dual_and_b32 v3, 0xffff, v3
	v_add3_u32 v35, 0, v29, v34
	v_add3_u32 v34, 0, v5, v36
	ds_load_b32 v37, v15
	ds_load_2addr_b32 v[93:94], v6 offset0:51 offset1:114
	ds_load_b32 v36, v16
	v_fmac_f32_e32 v38, v82, v73
	v_mul_u32_u24_e32 v3, 0x21c, v3
	v_dual_mul_f32 v65, v87, v22 :: v_dual_mul_f32 v16, v80, v24
	v_mul_f32_e32 v24, v83, v70
	global_wb scope:SCOPE_SE
	s_wait_loadcnt_dscnt 0x0
	v_add3_u32 v29, 0, v3, v7
	v_fmac_f32_e32 v65, v53, v21
	v_dual_mul_f32 v3, v39, v18 :: v_dual_mul_f32 v18, v26, v41
	v_mul_f32_e32 v39, v89, v76
	v_fma_f32 v61, v90, v23, -v16
	s_barrier_signal -1
	v_mul_f32_e32 v56, v9, v41
	v_fma_f32 v45, v9, v40, -v18
	v_sub_f32_e32 v18, v66, v65
	v_fma_f32 v59, v44, v17, -v3
	v_dual_fmac_f32 v39, v79, v75 :: v_dual_mul_f32 v44, v94, v78
	v_dual_fmac_f32 v56, v26, v40 :: v_dual_mul_f32 v7, v53, v22
	v_mul_f32_e32 v22, v54, v68
	v_fma_f32 v51, v93, v69, -v24
	s_delay_alu instid0(VALU_DEP_4) | instskip(SKIP_2) | instid1(VALU_DEP_4)
	v_dual_fmac_f32 v44, v84, v77 :: v_dual_mul_f32 v57, v93, v70
	v_mul_f32_e32 v63, v86, v20
	v_mul_f32_e32 v41, v49, v72
	v_sub_f32_e32 v24, v45, v51
	s_barrier_wait -1
	v_fmac_f32_e32 v57, v83, v69
	v_dual_mul_f32 v5, v50, v20 :: v_dual_mul_f32 v20, v81, v43
	v_fmac_f32_e32 v63, v50, v19
	v_fma_f32 v50, v88, v67, -v22
	v_fma_f32 v40, v85, v71, -v41
	v_add_f32_e32 v22, v27, v56
	v_fma_f32 v46, v91, v42, -v20
	v_dual_mul_f32 v55, v88, v68 :: v_dual_mul_f32 v68, v82, v74
	v_fma_f32 v60, v87, v21, -v7
	global_inv scope:SCOPE_SE
	v_sub_f32_e32 v26, v46, v50
	v_fmac_f32_e32 v55, v54, v67
	v_fma_f32 v41, v92, v73, -v68
	v_mul_f32_e32 v3, v79, v76
	v_dual_mul_f32 v43, v85, v72 :: v_dual_add_f32 v54, v56, v57
	s_delay_alu instid0(VALU_DEP_4) | instskip(SKIP_1) | instid1(VALU_DEP_4)
	v_sub_f32_e32 v68, v55, v57
	v_fma_f32 v64, v86, v19, -v5
	v_fma_f32 v42, v89, v75, -v3
	v_add_f32_e32 v19, v62, v66
	v_sub_f32_e32 v67, v52, v56
	s_delay_alu instid0(VALU_DEP_4) | instskip(NEXT) | instid1(VALU_DEP_4)
	v_dual_sub_f32 v16, v64, v60 :: v_dual_add_nc_u32 v11, 0x600, v13
	v_sub_f32_e32 v72, v41, v42
	v_fmac_f32_e32 v43, v49, v71
	v_add_f32_e32 v3, v25, v62
	s_delay_alu instid0(VALU_DEP_2) | instskip(SKIP_3) | instid1(VALU_DEP_3)
	v_add_f32_e32 v75, v43, v44
	v_mul_f32_e32 v5, v84, v78
	v_add_f32_e32 v69, v58, v43
	v_dual_sub_f32 v76, v38, v43 :: v_dual_sub_f32 v73, v43, v38
	v_fma_f32 v9, v94, v77, -v5
	v_add_f32_e32 v5, v63, v65
	s_delay_alu instid0(VALU_DEP_2) | instskip(SKIP_1) | instid1(VALU_DEP_3)
	v_sub_f32_e32 v71, v40, v9
	v_sub_f32_e32 v21, v65, v66
	v_fma_f32 v5, -0.5, v5, v25
	v_fmac_f32_e32 v25, -0.5, v19
	v_add_f32_e32 v19, v22, v52
	v_dual_add_f32 v22, v67, v68 :: v_dual_add_nc_u32 v31, 0xa00, v13
	v_dual_sub_f32 v20, v63, v62 :: v_dual_sub_f32 v17, v62, v63
	v_sub_f32_e32 v49, v56, v52
	v_dual_fmamk_f32 v68, v16, 0x3f737871, v25 :: v_dual_add_f32 v3, v3, v63
	v_fmac_f32_e32 v25, 0xbf737871, v16
	s_delay_alu instid0(VALU_DEP_4) | instskip(SKIP_1) | instid1(VALU_DEP_1)
	v_dual_add_f32 v17, v17, v18 :: v_dual_add_f32 v18, v20, v21
	v_add_f32_e32 v23, v52, v55
	v_fma_f32 v20, -0.5, v23, v27
	v_add_f32_e32 v23, v69, v38
	v_fmac_f32_e32 v27, -0.5, v54
	s_delay_alu instid0(VALU_DEP_3) | instskip(SKIP_1) | instid1(VALU_DEP_2)
	v_fmamk_f32 v69, v24, 0xbf737871, v20
	v_dual_fmac_f32 v20, 0x3f737871, v24 :: v_dual_add_f32 v3, v3, v65
	v_fmac_f32_e32 v69, 0xbf167918, v26
	s_delay_alu instid0(VALU_DEP_2) | instskip(SKIP_3) | instid1(VALU_DEP_4)
	v_dual_fmac_f32 v20, 0x3f167918, v26 :: v_dual_sub_f32 v77, v39, v44
	v_add_f32_e32 v70, v38, v39
	v_sub_f32_e32 v74, v44, v39
	v_add_f32_e32 v23, v23, v39
	v_dual_add_f32 v3, v3, v66 :: v_dual_add_f32 v54, v76, v77
	v_sub_f32_e32 v53, v57, v55
	v_add_f32_e32 v19, v19, v55
	s_delay_alu instid0(VALU_DEP_2) | instskip(SKIP_3) | instid1(VALU_DEP_4)
	v_add_f32_e32 v21, v49, v53
	v_fma_f32 v49, -0.5, v70, v58
	v_dual_fmac_f32 v58, -0.5, v75 :: v_dual_add_f32 v53, v73, v74
	v_fmamk_f32 v70, v26, 0x3f737871, v27
	v_fmac_f32_e32 v20, 0x3e9e377a, v21
	s_delay_alu instid0(VALU_DEP_3) | instskip(SKIP_1) | instid1(VALU_DEP_4)
	v_dual_sub_f32 v7, v59, v61 :: v_dual_fmamk_f32 v74, v72, 0x3f737871, v58
	v_fmac_f32_e32 v58, 0xbf737871, v72
	v_fmac_f32_e32 v70, 0xbf167918, v24
	;; [unrolled: 1-line block ×3, first 2 shown]
	s_delay_alu instid0(VALU_DEP_4)
	v_fmamk_f32 v67, v7, 0xbf737871, v5
	v_fmac_f32_e32 v5, 0x3f737871, v7
	v_fmac_f32_e32 v58, 0x3f167918, v71
	;; [unrolled: 1-line block ×7, first 2 shown]
	v_fmamk_f32 v73, v71, 0xbf737871, v49
	v_fmac_f32_e32 v49, 0x3f737871, v71
	v_fmac_f32_e32 v27, 0x3f167918, v24
	;; [unrolled: 1-line block ×9, first 2 shown]
	v_add_f32_e32 v7, v19, v57
	v_dual_fmac_f32 v69, 0x3e9e377a, v21 :: v_dual_add_f32 v16, v23, v44
	v_fmac_f32_e32 v70, 0x3e9e377a, v22
	v_fmac_f32_e32 v27, 0x3e9e377a, v22
	;; [unrolled: 1-line block ×3, first 2 shown]
	v_dual_fmac_f32 v49, 0x3e9e377a, v53 :: v_dual_fmac_f32 v74, 0x3e9e377a, v54
	ds_store_2addr_b32 v35, v3, v67 offset1:27
	ds_store_2addr_b32 v35, v68, v25 offset0:54 offset1:81
	ds_store_b32 v35, v5 offset:432
	ds_store_2addr_b32 v34, v7, v69 offset1:27
	ds_store_2addr_b32 v34, v70, v27 offset0:54 offset1:81
	ds_store_b32 v34, v20 offset:432
	;; [unrolled: 3-line block ×3, first 2 shown]
	global_wb scope:SCOPE_SE
	s_wait_dscnt 0x0
	s_barrier_signal -1
	s_barrier_wait -1
	global_inv scope:SCOPE_SE
	ds_load_2addr_b32 v[16:17], v13 offset1:135
	ds_load_2addr_b32 v[18:19], v30 offset0:70 offset1:142
	ds_load_2addr_b32 v[20:21], v10 offset0:77 offset1:149
	;; [unrolled: 1-line block ×5, first 2 shown]
	ds_load_b32 v53, v15
	ds_load_b32 v54, v13 offset:3492
	v_sub_nc_u32_e32 v3, 0, v28
	v_sub_nc_u32_e32 v58, 0, v4
                                        ; implicit-def: $vgpr5
                                        ; implicit-def: $vgpr7
	s_delay_alu instid0(VALU_DEP_2)
	v_add_nc_u32_e32 v15, v2, v3
                                        ; implicit-def: $vgpr2
	s_and_saveexec_b32 s1, s0
	s_cbranch_execz .LBB0_15
; %bb.14:
	ds_load_b32 v49, v15
	ds_load_2addr_b32 v[2:3], v10 offset0:5 offset1:140
	ds_load_2addr_b32 v[4:5], v14 offset0:19 offset1:154
	ds_load_2addr_b32 v[6:7], v6 offset0:33 offset1:168
.LBB0_15:
	s_wait_alu 0xfffe
	s_or_b32 exec_lo, exec_lo, s1
	v_dual_add_f32 v28, v64, v60 :: v_dual_sub_f32 v63, v63, v65
	v_dual_add_f32 v67, v8, v59 :: v_dual_sub_f32 v62, v62, v66
	v_sub_f32_e32 v66, v61, v60
	s_delay_alu instid0(VALU_DEP_3) | instskip(SKIP_3) | instid1(VALU_DEP_4)
	v_fma_f32 v28, -0.5, v28, v8
	v_sub_f32_e32 v65, v59, v64
	v_add_f32_e32 v68, v59, v61
	v_add_f32_e32 v67, v67, v64
	v_dual_sub_f32 v59, v64, v59 :: v_dual_fmamk_f32 v64, v62, 0x3f737871, v28
	v_fmac_f32_e32 v28, 0xbf737871, v62
	s_delay_alu instid0(VALU_DEP_3) | instskip(SKIP_3) | instid1(VALU_DEP_4)
	v_dual_add_f32 v65, v65, v66 :: v_dual_add_f32 v66, v67, v60
	v_fmac_f32_e32 v8, -0.5, v68
	v_sub_f32_e32 v60, v60, v61
	v_dual_sub_f32 v52, v52, v55 :: v_dual_sub_f32 v55, v45, v46
	v_add_f32_e32 v61, v66, v61
	s_delay_alu instid0(VALU_DEP_4) | instskip(SKIP_2) | instid1(VALU_DEP_3)
	v_fmamk_f32 v67, v63, 0xbf737871, v8
	v_fmac_f32_e32 v8, 0x3f737871, v63
	v_dual_fmac_f32 v64, 0x3f167918, v63 :: v_dual_add_f32 v59, v59, v60
	v_dual_sub_f32 v56, v56, v57 :: v_dual_fmac_f32 v67, 0x3f167918, v62
	s_delay_alu instid0(VALU_DEP_3) | instskip(SKIP_2) | instid1(VALU_DEP_4)
	v_fmac_f32_e32 v8, 0xbf167918, v62
	v_sub_f32_e32 v62, v51, v50
	v_add_f32_e32 v60, v37, v45
	v_dual_fmac_f32 v64, 0x3e9e377a, v65 :: v_dual_fmac_f32 v67, 0x3e9e377a, v59
	v_dual_sub_f32 v43, v43, v44 :: v_dual_sub_f32 v38, v38, v39
	s_delay_alu instid0(VALU_DEP_4) | instskip(NEXT) | instid1(VALU_DEP_4)
	v_dual_add_f32 v55, v55, v62 :: v_dual_fmac_f32 v28, 0xbf167918, v63
	v_add_f32_e32 v57, v60, v46
	global_wb scope:SCOPE_SE
	s_wait_dscnt 0x0
	s_barrier_signal -1
	s_barrier_wait -1
	v_dual_fmac_f32 v28, 0x3e9e377a, v65 :: v_dual_add_f32 v57, v57, v50
	v_dual_add_f32 v65, v45, v51 :: v_dual_add_f32 v66, v46, v50
	global_inv scope:SCOPE_SE
	v_sub_f32_e32 v45, v46, v45
	v_add_f32_e32 v57, v57, v51
	v_sub_f32_e32 v46, v50, v51
	v_fma_f32 v63, -0.5, v66, v37
	v_fmac_f32_e32 v37, -0.5, v65
	s_delay_alu instid0(VALU_DEP_3) | instskip(NEXT) | instid1(VALU_DEP_3)
	v_dual_add_f32 v51, v36, v40 :: v_dual_add_f32 v44, v45, v46
	v_fmamk_f32 v60, v56, 0x3f737871, v63
	v_fmac_f32_e32 v63, 0xbf737871, v56
	s_delay_alu instid0(VALU_DEP_2) | instskip(NEXT) | instid1(VALU_DEP_2)
	v_fmac_f32_e32 v60, 0x3f167918, v52
	v_fmac_f32_e32 v63, 0xbf167918, v52
	v_dual_fmac_f32 v8, 0x3e9e377a, v59 :: v_dual_add_f32 v59, v41, v42
	s_delay_alu instid0(VALU_DEP_3) | instskip(NEXT) | instid1(VALU_DEP_3)
	v_fmac_f32_e32 v60, 0x3e9e377a, v55
	v_fmac_f32_e32 v63, 0x3e9e377a, v55
	v_fmamk_f32 v55, v52, 0xbf737871, v37
	s_delay_alu instid0(VALU_DEP_4) | instskip(NEXT) | instid1(VALU_DEP_1)
	v_fma_f32 v50, -0.5, v59, v36
	v_dual_fmac_f32 v37, 0x3f737871, v52 :: v_dual_fmamk_f32 v46, v43, 0x3f737871, v50
	v_add_f32_e32 v45, v51, v41
	v_add_f32_e32 v51, v40, v9
	v_fmac_f32_e32 v55, 0x3f167918, v56
	s_delay_alu instid0(VALU_DEP_4) | instskip(SKIP_2) | instid1(VALU_DEP_3)
	v_fmac_f32_e32 v37, 0xbf167918, v56
	v_fmac_f32_e32 v46, 0x3f167918, v38
	v_dual_add_f32 v39, v45, v42 :: v_dual_fmac_f32 v50, 0xbf737871, v43
	v_dual_fmac_f32 v36, -0.5, v51 :: v_dual_fmac_f32 v37, 0x3e9e377a, v44
	s_delay_alu instid0(VALU_DEP_2) | instskip(NEXT) | instid1(VALU_DEP_2)
	v_fmac_f32_e32 v50, 0xbf167918, v38
	v_fmamk_f32 v51, v38, 0xbf737871, v36
	v_fmac_f32_e32 v36, 0x3f737871, v38
	s_delay_alu instid0(VALU_DEP_1) | instskip(SKIP_4) | instid1(VALU_DEP_4)
	v_dual_sub_f32 v45, v9, v42 :: v_dual_fmac_f32 v36, 0xbf167918, v43
	v_dual_fmac_f32 v55, 0x3e9e377a, v44 :: v_dual_sub_f32 v44, v40, v41
	v_dual_sub_f32 v40, v41, v40 :: v_dual_sub_f32 v41, v42, v9
	v_fmac_f32_e32 v51, 0x3f167918, v43
	v_add_f32_e32 v9, v39, v9
	v_add_f32_e32 v42, v44, v45
	s_delay_alu instid0(VALU_DEP_4) | instskip(NEXT) | instid1(VALU_DEP_2)
	v_add_f32_e32 v38, v40, v41
	v_fmac_f32_e32 v46, 0x3e9e377a, v42
	v_fmac_f32_e32 v50, 0x3e9e377a, v42
	s_delay_alu instid0(VALU_DEP_3)
	v_fmac_f32_e32 v51, 0x3e9e377a, v38
	v_fmac_f32_e32 v36, 0x3e9e377a, v38
	ds_store_2addr_b32 v35, v61, v64 offset1:27
	ds_store_2addr_b32 v35, v67, v8 offset0:54 offset1:81
	ds_store_b32 v35, v28 offset:432
	ds_store_2addr_b32 v34, v57, v60 offset1:27
	ds_store_2addr_b32 v34, v55, v37 offset0:54 offset1:81
	ds_store_b32 v34, v63 offset:432
	;; [unrolled: 3-line block ×3, first 2 shown]
	v_add_nc_u32_e32 v8, v12, v58
	global_wb scope:SCOPE_SE
	s_wait_dscnt 0x0
	s_barrier_signal -1
	s_barrier_wait -1
	global_inv scope:SCOPE_SE
	ds_load_2addr_b32 v[28:29], v13 offset1:135
	ds_load_2addr_b32 v[34:35], v30 offset0:70 offset1:142
	ds_load_2addr_b32 v[38:39], v10 offset0:77 offset1:149
	ds_load_2addr_b32 v[45:46], v11 offset0:84 offset1:156
	ds_load_2addr_b32 v[41:42], v14 offset0:91 offset1:163
	ds_load_2addr_b32 v[43:44], v31 offset0:98 offset1:170
	ds_load_b32 v55, v8
	ds_load_b32 v56, v13 offset:3492
                                        ; implicit-def: $vgpr12
                                        ; implicit-def: $vgpr9
                                        ; implicit-def: $vgpr11
	s_and_saveexec_b32 s1, s0
	s_cbranch_execz .LBB0_17
; %bb.16:
	v_add_nc_u32_e32 v8, 0x400, v13
	v_add_nc_u32_e32 v9, 0x800, v13
	;; [unrolled: 1-line block ×3, first 2 shown]
	ds_load_b32 v50, v15
	ds_load_2addr_b32 v[12:13], v8 offset0:5 offset1:140
	ds_load_2addr_b32 v[8:9], v9 offset0:19 offset1:154
	;; [unrolled: 1-line block ×3, first 2 shown]
.LBB0_17:
	s_wait_alu 0xfffe
	s_or_b32 exec_lo, exec_lo, s1
	s_and_saveexec_b32 s1, vcc_lo
	s_cbranch_execz .LBB0_20
; %bb.18:
	v_mul_u32_u24_e32 v14, 6, v47
	v_mad_co_u64_u32 v[81:82], null, s8, v32, 0
	v_dual_mov_b32 v15, 0 :: v_dual_add_nc_u32 v40, 0x10e, v47
	s_delay_alu instid0(VALU_DEP_3)
	v_lshlrev_b32_e32 v36, 3, v14
	v_mul_i32_i24_e32 v14, 6, v33
	s_clause 0x1
	global_load_b128 v[57:60], v36, s[4:5] offset:1088
	global_load_b128 v[61:64], v36, s[4:5] offset:1072
	v_lshlrev_b64_e32 v[30:31], 3, v[14:15]
	v_add_nc_u32_e32 v95, 0x195, v47
	v_add_nc_u32_e32 v96, 0x21c, v47
	;; [unrolled: 1-line block ×4, first 2 shown]
	v_add_co_u32 v30, vcc_lo, s4, v30
	s_wait_alu 0xfffd
	v_add_co_ci_u32_e32 v31, vcc_lo, s5, v31, vcc_lo
	v_add_co_u32 v51, vcc_lo, s10, v0
	s_clause 0x3
	global_load_b128 v[65:68], v[30:31], off offset:1056
	global_load_b128 v[69:72], v[30:31], off offset:1088
	;; [unrolled: 1-line block ×3, first 2 shown]
	global_load_b128 v[77:80], v36, s[4:5] offset:1056
	v_mad_co_u64_u32 v[36:37], null, s8, v47, 0
	v_add_nc_u32_e32 v33, 0x87, v47
	s_wait_alu 0xfffd
	v_add_co_ci_u32_e32 v52, vcc_lo, s11, v1, vcc_lo
	v_mov_b32_e32 v1, v82
	v_mad_co_u64_u32 v[85:86], null, s8, v40, 0
	v_mov_b32_e32 v0, v37
	v_mad_co_u64_u32 v[83:84], null, s8, v33, 0
	s_delay_alu instid0(VALU_DEP_4) | instskip(NEXT) | instid1(VALU_DEP_1)
	v_mad_co_u64_u32 v[30:31], null, s9, v32, v[1:2]
	v_mov_b32_e32 v82, v30
	s_delay_alu instid0(VALU_DEP_1)
	v_lshlrev_b64_e32 v[81:82], 3, v[81:82]
	s_wait_loadcnt 0x5
	v_mul_f32_e32 v103, v25, v57
	s_wait_loadcnt 0x4
	v_dual_mul_f32 v101, v27, v63 :: v_dual_mul_f32 v102, v21, v61
	v_dual_mul_f32 v14, v21, v62 :: v_dual_mul_f32 v21, v27, v64
	v_mad_co_u64_u32 v[89:90], null, s8, v96, 0
	v_mad_co_u64_u32 v[93:94], null, s8, v98, 0
	s_wait_dscnt 0x5
	s_delay_alu instid0(VALU_DEP_3)
	v_fma_f32 v27, v39, v61, -v14
	v_mov_b32_e32 v14, v84
	s_wait_dscnt 0x4
	v_dual_mul_f32 v100, v23, v59 :: v_dual_fmac_f32 v101, v46, v64
	v_fma_f32 v46, v46, v63, -v21
	v_mul_f32_e32 v21, v25, v58
	s_wait_dscnt 0x2
	s_delay_alu instid0(VALU_DEP_3) | instskip(SKIP_1) | instid1(VALU_DEP_3)
	v_dual_fmac_f32 v103, v42, v58 :: v_dual_fmac_f32 v100, v44, v60
	v_mad_co_u64_u32 v[91:92], null, s8, v97, 0
	v_fma_f32 v42, v42, v57, -v21
	v_mov_b32_e32 v21, v86
	v_mov_b32_e32 v1, v90
	v_mad_co_u64_u32 v[31:32], null, s9, v33, v[14:15]
	v_dual_mul_f32 v23, v23, v60 :: v_dual_mov_b32 v14, v92
	s_delay_alu instid0(VALU_DEP_4) | instskip(NEXT) | instid1(VALU_DEP_4)
	v_mad_co_u64_u32 v[32:33], null, s9, v40, v[21:22]
	v_mad_co_u64_u32 v[57:58], null, s9, v96, v[1:2]
	v_mov_b32_e32 v1, v94
	v_dual_fmac_f32 v102, v39, v62 :: v_dual_add_nc_u32 v99, 0xc6, v47
	v_fma_f32 v25, v44, v59, -v23
	v_mov_b32_e32 v86, v32
	s_delay_alu instid0(VALU_DEP_4)
	v_mad_co_u64_u32 v[58:59], null, s9, v47, v[0:1]
	v_mad_co_u64_u32 v[59:60], null, s9, v97, v[14:15]
	;; [unrolled: 1-line block ×4, first 2 shown]
	v_add_nc_u32_e32 v14, 0x14d, v47
	v_mad_co_u64_u32 v[87:88], null, s8, v95, 0
	s_delay_alu instid0(VALU_DEP_4)
	v_dual_mov_b32 v84, v31 :: v_dual_mov_b32 v1, v61
	v_mov_b32_e32 v90, v57
	v_lshlrev_b64_e32 v[85:86], 3, v[85:86]
	s_wait_loadcnt 0x2
	v_mul_f32_e32 v44, v22, v69
	v_lshlrev_b64_e32 v[83:84], 3, v[83:84]
	v_mad_co_u64_u32 v[61:62], null, s9, v99, v[1:2]
	v_mad_co_u64_u32 v[62:63], null, s8, v14, 0
	v_mov_b32_e32 v23, v88
	v_lshlrev_b64_e32 v[89:90], 3, v[89:90]
	v_mul_f32_e32 v22, v22, v70
	s_wait_loadcnt 0x1
	v_dual_mov_b32 v92, v59 :: v_dual_mul_f32 v21, v26, v73
	v_mad_co_u64_u32 v[39:40], null, s9, v95, v[23:24]
	v_mov_b32_e32 v1, v63
	v_mov_b32_e32 v37, v58
	s_delay_alu instid0(VALU_DEP_4) | instskip(SKIP_1) | instid1(VALU_DEP_4)
	v_lshlrev_b64_e32 v[91:92], 3, v[91:92]
	v_dual_mul_f32 v23, v26, v74 :: v_dual_mul_f32 v26, v24, v75
	v_mad_co_u64_u32 v[30:31], null, s9, v14, v[1:2]
	v_add_nc_u32_e32 v14, 0x1d4, v47
	v_mov_b32_e32 v88, v39
	v_mov_b32_e32 v94, v0
	v_lshlrev_b64_e32 v[97:98], 3, v[36:37]
	v_mul_f32_e32 v24, v24, v76
	v_mad_co_u64_u32 v[95:96], null, s8, v14, 0
	v_mov_b32_e32 v63, v30
	v_lshlrev_b64_e32 v[87:88], 3, v[87:88]
	v_lshlrev_b64_e32 v[93:94], 3, v[93:94]
	v_fma_f32 v23, v45, v73, -v23
	v_fmac_f32_e32 v21, v45, v74
	s_wait_loadcnt 0x0
	v_mul_f32_e32 v45, v17, v77
	v_mov_b32_e32 v1, v96
	v_dual_add_f32 v73, v101, v102 :: v_dual_add_f32 v74, v46, v27
	v_mul_f32_e32 v17, v17, v78
	v_sub_f32_e32 v27, v46, v27
	s_delay_alu instid0(VALU_DEP_4) | instskip(SKIP_4) | instid1(VALU_DEP_4)
	v_mad_co_u64_u32 v[32:33], null, s9, v14, v[1:2]
	v_add_nc_u32_e32 v14, 0x25b, v47
	v_fma_f32 v24, v41, v75, -v24
	v_fmac_f32_e32 v26, v41, v76
	v_fma_f32 v17, v29, v77, -v17
	v_mad_co_u64_u32 v[39:40], null, s8, v14, 0
	s_delay_alu instid0(VALU_DEP_4) | instskip(SKIP_2) | instid1(VALU_DEP_4)
	v_add_f32_e32 v41, v24, v23
	v_dual_mov_b32 v96, v32 :: v_dual_fmac_f32 v45, v29, v78
	v_sub_f32_e32 v23, v24, v23
	v_mov_b32_e32 v1, v40
	s_delay_alu instid0(VALU_DEP_1) | instskip(SKIP_1) | instid1(VALU_DEP_1)
	v_mad_co_u64_u32 v[57:58], null, s9, v14, v[1:2]
	v_add_nc_u32_e32 v14, 0x2e2, v47
	v_mad_co_u64_u32 v[0:1], null, s8, v14, 0
	s_delay_alu instid0(VALU_DEP_3) | instskip(SKIP_2) | instid1(VALU_DEP_4)
	v_dual_mov_b32 v40, v57 :: v_dual_mul_f32 v57, v20, v67
	v_mul_f32_e32 v20, v20, v68
	v_fmac_f32_e32 v44, v43, v70
	v_mad_co_u64_u32 v[58:59], null, s9, v14, v[1:2]
	v_lshlrev_b64_e32 v[59:60], 3, v[60:61]
	v_lshlrev_b64_e32 v[61:62], 3, v[62:63]
	v_add_co_u32 v63, vcc_lo, v51, v97
	s_wait_alu 0xfffd
	v_add_co_ci_u32_e32 v64, vcc_lo, v52, v98, vcc_lo
	v_add_co_u32 v81, vcc_lo, v51, v81
	v_add_nc_u32_e32 v14, 0x369, v47
	s_wait_alu 0xfffd
	v_add_co_ci_u32_e32 v82, vcc_lo, v52, v82, vcc_lo
	v_add_co_u32 v83, vcc_lo, v51, v83
	s_wait_alu 0xfffd
	v_add_co_ci_u32_e32 v84, vcc_lo, v52, v84, vcc_lo
	v_mad_co_u64_u32 v[30:31], null, s8, v14, 0
	v_add_co_u32 v85, vcc_lo, v51, v85
	s_wait_alu 0xfffd
	v_add_co_ci_u32_e32 v86, vcc_lo, v52, v86, vcc_lo
	v_add_co_u32 v87, vcc_lo, v51, v87
	s_delay_alu instid0(VALU_DEP_4)
	v_mov_b32_e32 v1, v31
	s_wait_alu 0xfffd
	v_add_co_ci_u32_e32 v88, vcc_lo, v52, v88, vcc_lo
	v_add_co_u32 v89, vcc_lo, v51, v89
	s_wait_alu 0xfffd
	v_add_co_ci_u32_e32 v90, vcc_lo, v52, v90, vcc_lo
	v_add_co_u32 v91, vcc_lo, v51, v91
	;; [unrolled: 3-line block ×3, first 2 shown]
	v_mad_co_u64_u32 v[31:32], null, s9, v14, v[1:2]
	v_mul_f32_e32 v1, v18, v65
	v_mul_f32_e32 v14, v54, v71
	;; [unrolled: 1-line block ×4, first 2 shown]
	s_wait_alu 0xfffd
	v_add_co_ci_u32_e32 v94, vcc_lo, v52, v94, vcc_lo
	v_add_co_u32 v59, vcc_lo, v51, v59
	s_wait_alu 0xfffd
	v_add_co_ci_u32_e32 v60, vcc_lo, v52, v60, vcc_lo
	v_lshlrev_b64_e32 v[32:33], 3, v[39:40]
	v_add_co_u32 v39, vcc_lo, v51, v61
	v_mul_f32_e32 v61, v19, v79
	v_mul_f32_e32 v19, v19, v80
	s_wait_dscnt 0x0
	v_fma_f32 v46, v56, v71, -v54
	v_fma_f32 v18, v34, v65, -v18
	;; [unrolled: 1-line block ×4, first 2 shown]
	s_wait_alu 0xfffd
	v_add_co_ci_u32_e32 v40, vcc_lo, v52, v62, vcc_lo
	v_dual_sub_f32 v62, v101, v102 :: v_dual_fmac_f32 v57, v38, v68
	v_dual_fmac_f32 v1, v34, v66 :: v_dual_fmac_f32 v14, v56, v72
	v_dual_fmac_f32 v61, v35, v80 :: v_dual_add_f32 v38, v18, v46
	v_fma_f32 v19, v35, v79, -v19
	v_dual_sub_f32 v34, v26, v21 :: v_dual_add_f32 v43, v20, v22
	s_delay_alu instid0(VALU_DEP_4)
	v_sub_f32_e32 v29, v1, v14
	v_dual_sub_f32 v35, v57, v44 :: v_dual_sub_f32 v18, v18, v46
	v_dual_add_f32 v1, v1, v14 :: v_dual_add_f32 v14, v26, v21
	v_dual_add_f32 v21, v57, v44 :: v_dual_sub_f32 v20, v20, v22
	v_sub_f32_e32 v22, v45, v100
	v_sub_f32_e32 v24, v61, v103
	v_dual_add_f32 v26, v17, v25 :: v_dual_add_f32 v57, v38, v43
	v_dual_add_f32 v44, v19, v42 :: v_dual_add_f32 v45, v45, v100
	v_dual_add_f32 v46, v61, v103 :: v_dual_sub_f32 v65, v14, v21
	v_sub_f32_e32 v17, v17, v25
	v_sub_f32_e32 v19, v19, v42
	v_dual_sub_f32 v25, v29, v34 :: v_dual_sub_f32 v54, v38, v41
	v_sub_f32_e32 v42, v34, v35
	v_add_f32_e32 v34, v34, v35
	v_sub_f32_e32 v56, v41, v43
	v_dual_sub_f32 v61, v1, v14 :: v_dual_sub_f32 v68, v23, v20
	v_dual_add_f32 v66, v1, v21 :: v_dual_sub_f32 v67, v18, v23
	v_add_f32_e32 v23, v23, v20
	v_dual_sub_f32 v35, v35, v29 :: v_dual_sub_f32 v20, v20, v18
	v_dual_sub_f32 v38, v43, v38 :: v_dual_sub_f32 v1, v21, v1
	;; [unrolled: 1-line block ×3, first 2 shown]
	v_dual_sub_f32 v43, v62, v24 :: v_dual_add_f32 v76, v45, v46
	v_dual_add_f32 v62, v62, v24 :: v_dual_sub_f32 v75, v73, v46
	v_dual_sub_f32 v69, v26, v74 :: v_dual_sub_f32 v78, v27, v19
	v_dual_sub_f32 v70, v74, v44 :: v_dual_sub_f32 v77, v17, v27
	v_dual_add_f32 v71, v26, v44 :: v_dual_sub_f32 v24, v24, v22
	v_dual_add_f32 v27, v27, v19 :: v_dual_sub_f32 v44, v44, v26
	v_dual_add_f32 v41, v41, v57 :: v_dual_add_f32 v14, v14, v66
	v_dual_sub_f32 v45, v46, v45 :: v_dual_mul_f32 v42, 0x3f08b237, v42
	v_sub_f32_e32 v19, v19, v17
	v_dual_add_f32 v29, v29, v34 :: v_dual_mul_f32 v46, 0x3d64c772, v56
	v_mul_f32_e32 v34, 0x3f4a47b2, v54
	v_mul_f32_e32 v56, 0x3f4a47b2, v61
	v_dual_mul_f32 v57, 0x3d64c772, v65 :: v_dual_add_f32 v18, v18, v23
	v_dual_mul_f32 v65, 0x3f08b237, v68 :: v_dual_add_f32 v22, v22, v62
	v_dual_mul_f32 v23, 0xbf5ff5aa, v35 :: v_dual_mul_f32 v66, 0xbf5ff5aa, v20
	v_dual_mul_f32 v43, 0x3f08b237, v43 :: v_dual_add_f32 v26, v53, v14
	v_dual_mul_f32 v62, 0x3f4a47b2, v69 :: v_dual_add_f32 v73, v73, v76
	v_mul_f32_e32 v68, 0x3d64c772, v70
	v_dual_add_f32 v70, v74, v71 :: v_dual_mul_f32 v71, 0x3f4a47b2, v72
	v_dual_add_f32 v76, v17, v27 :: v_dual_fmamk_f32 v53, v67, 0xbeae86e6, v65
	v_dual_add_f32 v27, v55, v41 :: v_dual_mul_f32 v74, 0x3d64c772, v75
	v_mul_f32_e32 v75, 0x3f08b237, v78
	s_delay_alu instid0(VALU_DEP_4)
	v_dual_add_f32 v17, v28, v70 :: v_dual_mul_f32 v78, 0xbf5ff5aa, v24
	v_mul_f32_e32 v79, 0xbf5ff5aa, v19
	v_dual_fmamk_f32 v54, v54, 0x3f4a47b2, v46 :: v_dual_fmamk_f32 v55, v61, 0x3f4a47b2, v57
	v_fmamk_f32 v80, v25, 0xbeae86e6, v42
	v_fma_f32 v25, 0x3eae86e6, v25, -v23
	v_fma_f32 v23, 0xbf3bfb3b, v38, -v34
	;; [unrolled: 1-line block ×8, first 2 shown]
	v_dual_fmamk_f32 v57, v21, 0xbeae86e6, v43 :: v_dual_add_f32 v16, v16, v73
	v_fma_f32 v46, 0xbf3bfb3b, v45, -v71
	v_fma_f32 v43, 0xbf5ff5aa, v24, -v43
	v_fmamk_f32 v24, v41, 0xbf955555, v27
	v_fma_f32 v65, 0x3eae86e6, v21, -v78
	v_fma_f32 v21, 0xbf3bfb3b, v44, -v62
	v_fmac_f32_e32 v53, 0xbee1c552, v18
	v_dual_fmac_f32 v25, 0xbee1c552, v29 :: v_dual_fmac_f32 v56, 0xbee1c552, v18
	v_dual_fmac_f32 v35, 0xbee1c552, v29 :: v_dual_fmac_f32 v42, 0xbee1c552, v18
	v_fmamk_f32 v18, v70, 0xbf955555, v17
	v_dual_add_f32 v41, v54, v24 :: v_dual_fmac_f32 v80, 0xbee1c552, v29
	v_fmamk_f32 v29, v73, 0xbf955555, v16
	v_fmamk_f32 v14, v14, 0xbf955555, v26
	;; [unrolled: 1-line block ×3, first 2 shown]
	v_fma_f32 v44, 0x3f3bfb3b, v44, -v68
	v_fma_f32 v66, 0xbf5ff5aa, v19, -v75
	;; [unrolled: 1-line block ×3, first 2 shown]
	v_add_f32_e32 v45, v55, v14
	global_store_b64 v[63:64], v[16:17], off
	v_dual_add_f32 v55, v21, v18 :: v_dual_fmamk_f32 v28, v72, 0x3f4a47b2, v74
	v_add_f32_e32 v1, v1, v14
	v_add_f32_e32 v63, v46, v29
	v_dual_fmamk_f32 v61, v77, 0xbeae86e6, v75 :: v_dual_add_f32 v54, v23, v24
	v_fma_f32 v62, 0x3eae86e6, v77, -v79
	v_fmac_f32_e32 v57, 0xbee1c552, v22
	v_dual_fmac_f32 v65, 0xbee1c552, v22 :: v_dual_fmac_f32 v66, 0xbee1c552, v76
	s_delay_alu instid0(VALU_DEP_4)
	v_dual_fmac_f32 v61, 0xbee1c552, v76 :: v_dual_add_f32 v34, v34, v14
	v_dual_fmac_f32 v43, 0xbee1c552, v22 :: v_dual_add_f32 v22, v38, v24
	v_add_f32_e32 v14, v20, v18
	v_add_f32_e32 v38, v28, v29
	;; [unrolled: 1-line block ×3, first 2 shown]
	v_fmac_f32_e32 v62, 0xbee1c552, v76
	v_dual_add_f32 v64, v19, v29 :: v_dual_sub_f32 v29, v41, v80
	v_lshlrev_b64_e32 v[36:37], 3, v[95:96]
	v_dual_add_f32 v17, v80, v41 :: v_dual_sub_f32 v18, v34, v56
	v_dual_sub_f32 v16, v45, v53 :: v_dual_add_f32 v23, v35, v22
	v_add_f32_e32 v19, v25, v54
	v_sub_f32_e32 v21, v22, v35
	v_dual_add_f32 v20, v42, v1 :: v_dual_add_f32 v35, v57, v14
	v_dual_sub_f32 v22, v1, v42 :: v_dual_sub_f32 v25, v54, v25
	v_add_f32_e32 v24, v56, v34
	v_sub_f32_e32 v34, v38, v61
	v_dual_add_f32 v42, v65, v55 :: v_dual_sub_f32 v41, v63, v62
	v_sub_f32_e32 v44, v46, v43
	v_dual_add_f32 v46, v43, v46 :: v_dual_mov_b32 v1, v58
	v_sub_f32_e32 v54, v55, v65
	v_dual_sub_f32 v56, v14, v57 :: v_dual_add_f32 v55, v61, v38
	v_dual_add_f32 v28, v53, v45 :: v_dual_sub_f32 v45, v64, v66
	v_add_f32_e32 v53, v62, v63
	v_add_f32_e32 v43, v66, v64
	s_clause 0x7
	global_store_b64 v[83:84], v[55:56], off
	global_store_b64 v[85:86], v[53:54], off
	;; [unrolled: 1-line block ×8, first 2 shown]
	v_add_co_u32 v26, vcc_lo, v51, v36
	v_lshlrev_b64_e32 v[0:1], 3, v[0:1]
	s_wait_alu 0xfffd
	v_add_co_ci_u32_e32 v27, vcc_lo, v52, v37, vcc_lo
	v_add_co_u32 v28, vcc_lo, v51, v32
	v_lshlrev_b64_e32 v[30:31], 3, v[30:31]
	s_wait_alu 0xfffd
	v_add_co_ci_u32_e32 v29, vcc_lo, v52, v33, vcc_lo
	v_add_co_u32 v0, vcc_lo, v51, v0
	s_wait_alu 0xfffd
	v_add_co_ci_u32_e32 v1, vcc_lo, v52, v1, vcc_lo
	v_add_co_u32 v30, vcc_lo, v51, v30
	s_wait_alu 0xfffd
	v_add_co_ci_u32_e32 v31, vcc_lo, v52, v31, vcc_lo
	s_clause 0x4
	global_store_b64 v[39:40], v[24:25], off
	global_store_b64 v[26:27], v[22:23], off
	;; [unrolled: 1-line block ×5, first 2 shown]
	s_and_b32 exec_lo, exec_lo, s0
	s_cbranch_execz .LBB0_20
; %bb.19:
	v_add_nc_u32_e32 v0, -9, v47
	v_add_nc_u32_e32 v38, 0x7e, v47
	v_add_nc_u32_e32 v40, 0x105, v47
	;; [unrolled: 1-line block ×4, first 2 shown]
	v_cndmask_b32_e64 v0, v0, v48, s0
	s_delay_alu instid0(VALU_DEP_4) | instskip(NEXT) | instid1(VALU_DEP_4)
	v_mad_co_u64_u32 v[26:27], null, s8, v40, 0
	v_mad_co_u64_u32 v[30:31], null, s8, v42, 0
	s_delay_alu instid0(VALU_DEP_3) | instskip(SKIP_1) | instid1(VALU_DEP_2)
	v_mul_i32_i24_e32 v14, 6, v0
	v_mad_co_u64_u32 v[34:35], null, s8, v44, 0
	v_lshlrev_b64_e32 v[0:1], 3, v[14:15]
	s_delay_alu instid0(VALU_DEP_1) | instskip(SKIP_1) | instid1(VALU_DEP_2)
	v_add_co_u32 v0, vcc_lo, s4, v0
	s_wait_alu 0xfffd
	v_add_co_ci_u32_e32 v1, vcc_lo, s5, v1, vcc_lo
	s_clause 0x2
	global_load_b128 v[14:17], v[0:1], off offset:1056
	global_load_b128 v[18:21], v[0:1], off offset:1072
	;; [unrolled: 1-line block ×3, first 2 shown]
	v_add_nc_u32_e32 v41, 0x18c, v47
	v_mad_co_u64_u32 v[0:1], null, s8, v38, 0
	s_delay_alu instid0(VALU_DEP_2) | instskip(NEXT) | instid1(VALU_DEP_2)
	v_mad_co_u64_u32 v[28:29], null, s8, v41, 0
	v_mad_co_u64_u32 v[38:39], null, s9, v38, v[1:2]
	s_delay_alu instid0(VALU_DEP_2) | instskip(NEXT) | instid1(VALU_DEP_3)
	v_mad_co_u64_u32 v[39:40], null, s9, v40, v[27:28]
	v_mad_co_u64_u32 v[40:41], null, s9, v41, v[29:30]
	s_delay_alu instid0(VALU_DEP_3) | instskip(NEXT) | instid1(VALU_DEP_3)
	v_mov_b32_e32 v1, v38
	v_mov_b32_e32 v27, v39
	s_delay_alu instid0(VALU_DEP_2) | instskip(NEXT) | instid1(VALU_DEP_4)
	v_lshlrev_b64_e32 v[0:1], 3, v[0:1]
	v_mov_b32_e32 v29, v40
	s_delay_alu instid0(VALU_DEP_3) | instskip(NEXT) | instid1(VALU_DEP_2)
	v_lshlrev_b64_e32 v[26:27], 3, v[26:27]
	v_lshlrev_b64_e32 v[28:29], 3, v[28:29]
	s_delay_alu instid0(VALU_DEP_4) | instskip(SKIP_2) | instid1(VALU_DEP_4)
	v_add_co_u32 v0, vcc_lo, v51, v0
	s_wait_alu 0xfffd
	v_add_co_ci_u32_e32 v1, vcc_lo, v52, v1, vcc_lo
	v_add_co_u32 v26, vcc_lo, v51, v26
	s_wait_alu 0xfffd
	v_add_co_ci_u32_e32 v27, vcc_lo, v52, v27, vcc_lo
	v_add_co_u32 v28, vcc_lo, v51, v28
	s_wait_alu 0xfffd
	v_add_co_ci_u32_e32 v29, vcc_lo, v52, v29, vcc_lo
	s_wait_loadcnt 0x1
	v_dual_mul_f32 v39, v13, v17 :: v_dual_mul_f32 v40, v8, v19
	v_add_nc_u32_e32 v43, 0x29a, v47
	v_mul_f32_e32 v17, v3, v17
	s_delay_alu instid0(VALU_DEP_3) | instskip(NEXT) | instid1(VALU_DEP_3)
	v_dual_fmac_f32 v39, v3, v16 :: v_dual_fmac_f32 v40, v4, v18
	v_mad_co_u64_u32 v[32:33], null, s8, v43, 0
	s_delay_alu instid0(VALU_DEP_1) | instskip(NEXT) | instid1(VALU_DEP_2)
	v_mad_co_u64_u32 v[41:42], null, s9, v42, v[31:32]
	v_mad_co_u64_u32 v[42:43], null, s9, v43, v[33:34]
	s_delay_alu instid0(VALU_DEP_2) | instskip(NEXT) | instid1(VALU_DEP_2)
	v_mov_b32_e32 v31, v41
	v_mov_b32_e32 v33, v42
	s_wait_loadcnt 0x0
	v_mul_f32_e32 v42, v10, v23
	v_add_nc_u32_e32 v45, 0x3a8, v47
	v_mul_f32_e32 v23, v6, v23
	v_fma_f32 v3, v13, v16, -v17
	v_lshlrev_b64_e32 v[30:31], 3, v[30:31]
	v_fmac_f32_e32 v42, v6, v22
	v_mad_co_u64_u32 v[36:37], null, s8, v45, 0
	v_fma_f32 v6, v10, v22, -v23
	v_lshlrev_b64_e32 v[32:33], 3, v[32:33]
	v_add_co_u32 v30, vcc_lo, v51, v30
	s_wait_alu 0xfffd
	v_add_co_ci_u32_e32 v31, vcc_lo, v52, v31, vcc_lo
	v_mad_co_u64_u32 v[43:44], null, s9, v44, v[35:36]
	v_mad_co_u64_u32 v[44:45], null, s9, v45, v[37:38]
	v_mul_f32_e32 v38, v12, v15
	v_mul_f32_e32 v15, v2, v15
	v_add_co_u32 v32, vcc_lo, v51, v32
	v_mov_b32_e32 v35, v43
	v_mul_f32_e32 v43, v11, v25
	v_dual_mul_f32 v25, v7, v25 :: v_dual_fmac_f32 v38, v2, v14
	v_fma_f32 v2, v12, v14, -v15
	s_delay_alu instid0(VALU_DEP_4) | instskip(NEXT) | instid1(VALU_DEP_4)
	v_lshlrev_b64_e32 v[34:35], 3, v[34:35]
	v_fmac_f32_e32 v43, v7, v24
	v_mul_f32_e32 v41, v9, v21
	v_mul_f32_e32 v21, v5, v21
	v_mov_b32_e32 v37, v44
	s_wait_alu 0xfffd
	v_add_co_ci_u32_e32 v33, vcc_lo, v52, v33, vcc_lo
	v_dual_sub_f32 v10, v38, v43 :: v_dual_fmac_f32 v41, v5, v20
	v_fma_f32 v5, v11, v24, -v25
	v_mul_f32_e32 v19, v4, v19
	v_fma_f32 v7, v9, v20, -v21
	v_add_co_u32 v34, vcc_lo, v51, v34
	v_dual_sub_f32 v14, v41, v40 :: v_dual_add_f32 v11, v3, v6
	v_sub_f32_e32 v3, v3, v6
	v_add_f32_e32 v9, v2, v5
	v_sub_f32_e32 v2, v2, v5
	v_fma_f32 v4, v8, v18, -v19
	v_dual_add_f32 v8, v38, v43 :: v_dual_add_f32 v5, v39, v42
	v_add_f32_e32 v6, v40, v41
	v_lshlrev_b64_e32 v[36:37], 3, v[36:37]
	s_delay_alu instid0(VALU_DEP_4) | instskip(NEXT) | instid1(VALU_DEP_4)
	v_dual_add_f32 v13, v4, v7 :: v_dual_sub_f32 v4, v7, v4
	v_add_f32_e32 v7, v5, v8
	v_sub_f32_e32 v16, v5, v8
	v_sub_f32_e32 v8, v8, v6
	s_delay_alu instid0(VALU_DEP_4) | instskip(SKIP_2) | instid1(VALU_DEP_3)
	v_dual_sub_f32 v12, v39, v42 :: v_dual_add_f32 v19, v4, v3
	v_dual_sub_f32 v21, v4, v3 :: v_dual_sub_f32 v4, v2, v4
	v_sub_f32_e32 v22, v3, v2
	v_add_f32_e32 v18, v14, v12
	v_dual_sub_f32 v20, v14, v12 :: v_dual_add_f32 v15, v11, v9
	v_dual_sub_f32 v17, v11, v9 :: v_dual_mul_f32 v8, 0x3f4a47b2, v8
	v_sub_f32_e32 v14, v10, v14
	v_sub_f32_e32 v12, v12, v10
	v_dual_add_f32 v10, v18, v10 :: v_dual_sub_f32 v11, v13, v11
	v_sub_f32_e32 v5, v6, v5
	v_sub_f32_e32 v9, v9, v13
	v_mul_f32_e32 v23, 0xbf5ff5aa, v22
	s_wait_alu 0xfffd
	v_add_co_ci_u32_e32 v35, vcc_lo, v52, v35, vcc_lo
	v_mul_f32_e32 v18, 0x3d64c772, v11
	v_add_f32_e32 v6, v6, v7
	v_add_f32_e32 v7, v13, v15
	;; [unrolled: 1-line block ×3, first 2 shown]
	v_dual_mul_f32 v19, 0x3f08b237, v20 :: v_dual_mul_f32 v20, 0x3f08b237, v21
	s_delay_alu instid0(VALU_DEP_4)
	v_dual_add_f32 v2, v49, v6 :: v_dual_mul_f32 v15, 0x3d64c772, v5
	v_mul_f32_e32 v21, 0xbf5ff5aa, v12
	v_fmamk_f32 v5, v5, 0x3d64c772, v8
	v_fma_f32 v8, 0xbf3bfb3b, v16, -v8
	v_fma_f32 v18, 0x3f3bfb3b, v17, -v18
	;; [unrolled: 1-line block ×3, first 2 shown]
	v_fmamk_f32 v16, v14, 0xbeae86e6, v19
	v_mul_f32_e32 v9, 0x3f4a47b2, v9
	v_fma_f32 v12, 0xbf5ff5aa, v12, -v19
	v_fma_f32 v19, 0xbf5ff5aa, v22, -v20
	;; [unrolled: 1-line block ×3, first 2 shown]
	v_dual_fmac_f32 v16, 0xbee1c552, v10 :: v_dual_add_f32 v3, v50, v7
	s_delay_alu instid0(VALU_DEP_4)
	v_fmac_f32_e32 v12, 0xbee1c552, v10
	v_fmamk_f32 v11, v11, 0x3d64c772, v9
	v_fma_f32 v9, 0xbf3bfb3b, v17, -v9
	v_fmamk_f32 v17, v4, 0xbeae86e6, v20
	v_fma_f32 v20, 0x3eae86e6, v4, -v23
	v_fmamk_f32 v4, v6, 0xbf955555, v2
	v_fmamk_f32 v6, v7, 0xbf955555, v3
	v_fmac_f32_e32 v14, 0xbee1c552, v10
	global_store_b64 v[0:1], v[2:3], off
	v_add_co_u32 v36, vcc_lo, v51, v36
	v_add_f32_e32 v7, v15, v4
	v_add_f32_e32 v10, v5, v4
	v_fmac_f32_e32 v20, 0xbee1c552, v13
	v_dual_add_f32 v8, v8, v4 :: v_dual_fmac_f32 v17, 0xbee1c552, v13
	v_add_f32_e32 v9, v9, v6
	v_fmac_f32_e32 v19, 0xbee1c552, v13
	s_delay_alu instid0(VALU_DEP_3) | instskip(SKIP_2) | instid1(VALU_DEP_4)
	v_dual_add_f32 v13, v18, v6 :: v_dual_add_f32 v2, v20, v8
	v_dual_sub_f32 v8, v8, v20 :: v_dual_add_f32 v11, v11, v6
	v_add_f32_e32 v0, v17, v10
	v_dual_sub_f32 v3, v9, v14 :: v_dual_sub_f32 v4, v7, v19
	s_delay_alu instid0(VALU_DEP_4) | instskip(NEXT) | instid1(VALU_DEP_4)
	v_add_f32_e32 v5, v12, v13
	v_sub_f32_e32 v1, v11, v16
	v_dual_add_f32 v6, v19, v7 :: v_dual_sub_f32 v7, v13, v12
	v_add_f32_e32 v9, v14, v9
	s_wait_alu 0xfffd
	v_add_co_ci_u32_e32 v37, vcc_lo, v52, v37, vcc_lo
	v_dual_sub_f32 v10, v10, v17 :: v_dual_add_f32 v11, v16, v11
	s_clause 0x5
	global_store_b64 v[26:27], v[0:1], off
	global_store_b64 v[28:29], v[2:3], off
	;; [unrolled: 1-line block ×6, first 2 shown]
.LBB0_20:
	s_nop 0
	s_sendmsg sendmsg(MSG_DEALLOC_VGPRS)
	s_endpgm
	.section	.rodata,"a",@progbits
	.p2align	6, 0x0
	.amdhsa_kernel fft_rtc_back_len945_factors_3_3_3_5_7_wgs_63_tpt_63_halfLds_sp_ip_CI_sbrr_dirReg
		.amdhsa_group_segment_fixed_size 0
		.amdhsa_private_segment_fixed_size 0
		.amdhsa_kernarg_size 88
		.amdhsa_user_sgpr_count 2
		.amdhsa_user_sgpr_dispatch_ptr 0
		.amdhsa_user_sgpr_queue_ptr 0
		.amdhsa_user_sgpr_kernarg_segment_ptr 1
		.amdhsa_user_sgpr_dispatch_id 0
		.amdhsa_user_sgpr_private_segment_size 0
		.amdhsa_wavefront_size32 1
		.amdhsa_uses_dynamic_stack 0
		.amdhsa_enable_private_segment 0
		.amdhsa_system_sgpr_workgroup_id_x 1
		.amdhsa_system_sgpr_workgroup_id_y 0
		.amdhsa_system_sgpr_workgroup_id_z 0
		.amdhsa_system_sgpr_workgroup_info 0
		.amdhsa_system_vgpr_workitem_id 0
		.amdhsa_next_free_vgpr 104
		.amdhsa_next_free_sgpr 35
		.amdhsa_reserve_vcc 1
		.amdhsa_float_round_mode_32 0
		.amdhsa_float_round_mode_16_64 0
		.amdhsa_float_denorm_mode_32 3
		.amdhsa_float_denorm_mode_16_64 3
		.amdhsa_fp16_overflow 0
		.amdhsa_workgroup_processor_mode 1
		.amdhsa_memory_ordered 1
		.amdhsa_forward_progress 0
		.amdhsa_round_robin_scheduling 0
		.amdhsa_exception_fp_ieee_invalid_op 0
		.amdhsa_exception_fp_denorm_src 0
		.amdhsa_exception_fp_ieee_div_zero 0
		.amdhsa_exception_fp_ieee_overflow 0
		.amdhsa_exception_fp_ieee_underflow 0
		.amdhsa_exception_fp_ieee_inexact 0
		.amdhsa_exception_int_div_zero 0
	.end_amdhsa_kernel
	.text
.Lfunc_end0:
	.size	fft_rtc_back_len945_factors_3_3_3_5_7_wgs_63_tpt_63_halfLds_sp_ip_CI_sbrr_dirReg, .Lfunc_end0-fft_rtc_back_len945_factors_3_3_3_5_7_wgs_63_tpt_63_halfLds_sp_ip_CI_sbrr_dirReg
                                        ; -- End function
	.section	.AMDGPU.csdata,"",@progbits
; Kernel info:
; codeLenInByte = 12060
; NumSgprs: 37
; NumVgprs: 104
; ScratchSize: 0
; MemoryBound: 0
; FloatMode: 240
; IeeeMode: 1
; LDSByteSize: 0 bytes/workgroup (compile time only)
; SGPRBlocks: 4
; VGPRBlocks: 12
; NumSGPRsForWavesPerEU: 37
; NumVGPRsForWavesPerEU: 104
; Occupancy: 12
; WaveLimiterHint : 1
; COMPUTE_PGM_RSRC2:SCRATCH_EN: 0
; COMPUTE_PGM_RSRC2:USER_SGPR: 2
; COMPUTE_PGM_RSRC2:TRAP_HANDLER: 0
; COMPUTE_PGM_RSRC2:TGID_X_EN: 1
; COMPUTE_PGM_RSRC2:TGID_Y_EN: 0
; COMPUTE_PGM_RSRC2:TGID_Z_EN: 0
; COMPUTE_PGM_RSRC2:TIDIG_COMP_CNT: 0
	.text
	.p2alignl 7, 3214868480
	.fill 96, 4, 3214868480
	.type	__hip_cuid_83b08eecdf33f450,@object ; @__hip_cuid_83b08eecdf33f450
	.section	.bss,"aw",@nobits
	.globl	__hip_cuid_83b08eecdf33f450
__hip_cuid_83b08eecdf33f450:
	.byte	0                               ; 0x0
	.size	__hip_cuid_83b08eecdf33f450, 1

	.ident	"AMD clang version 19.0.0git (https://github.com/RadeonOpenCompute/llvm-project roc-6.4.0 25133 c7fe45cf4b819c5991fe208aaa96edf142730f1d)"
	.section	".note.GNU-stack","",@progbits
	.addrsig
	.addrsig_sym __hip_cuid_83b08eecdf33f450
	.amdgpu_metadata
---
amdhsa.kernels:
  - .args:
      - .actual_access:  read_only
        .address_space:  global
        .offset:         0
        .size:           8
        .value_kind:     global_buffer
      - .offset:         8
        .size:           8
        .value_kind:     by_value
      - .actual_access:  read_only
        .address_space:  global
        .offset:         16
        .size:           8
        .value_kind:     global_buffer
      - .actual_access:  read_only
        .address_space:  global
        .offset:         24
        .size:           8
        .value_kind:     global_buffer
      - .offset:         32
        .size:           8
        .value_kind:     by_value
      - .actual_access:  read_only
        .address_space:  global
        .offset:         40
        .size:           8
        .value_kind:     global_buffer
      - .actual_access:  read_only
        .address_space:  global
        .offset:         48
        .size:           8
        .value_kind:     global_buffer
      - .offset:         56
        .size:           4
        .value_kind:     by_value
      - .actual_access:  read_only
        .address_space:  global
        .offset:         64
        .size:           8
        .value_kind:     global_buffer
      - .actual_access:  read_only
        .address_space:  global
        .offset:         72
        .size:           8
        .value_kind:     global_buffer
      - .address_space:  global
        .offset:         80
        .size:           8
        .value_kind:     global_buffer
    .group_segment_fixed_size: 0
    .kernarg_segment_align: 8
    .kernarg_segment_size: 88
    .language:       OpenCL C
    .language_version:
      - 2
      - 0
    .max_flat_workgroup_size: 63
    .name:           fft_rtc_back_len945_factors_3_3_3_5_7_wgs_63_tpt_63_halfLds_sp_ip_CI_sbrr_dirReg
    .private_segment_fixed_size: 0
    .sgpr_count:     37
    .sgpr_spill_count: 0
    .symbol:         fft_rtc_back_len945_factors_3_3_3_5_7_wgs_63_tpt_63_halfLds_sp_ip_CI_sbrr_dirReg.kd
    .uniform_work_group_size: 1
    .uses_dynamic_stack: false
    .vgpr_count:     104
    .vgpr_spill_count: 0
    .wavefront_size: 32
    .workgroup_processor_mode: 1
amdhsa.target:   amdgcn-amd-amdhsa--gfx1201
amdhsa.version:
  - 1
  - 2
...

	.end_amdgpu_metadata
